;; amdgpu-corpus repo=ROCm/rocFFT kind=compiled arch=gfx906 opt=O3
	.text
	.amdgcn_target "amdgcn-amd-amdhsa--gfx906"
	.amdhsa_code_object_version 6
	.protected	fft_rtc_back_len306_factors_17_2_9_wgs_238_tpt_34_halfLds_dp_ip_CI_unitstride_sbrr_C2R_dirReg ; -- Begin function fft_rtc_back_len306_factors_17_2_9_wgs_238_tpt_34_halfLds_dp_ip_CI_unitstride_sbrr_C2R_dirReg
	.globl	fft_rtc_back_len306_factors_17_2_9_wgs_238_tpt_34_halfLds_dp_ip_CI_unitstride_sbrr_C2R_dirReg
	.p2align	8
	.type	fft_rtc_back_len306_factors_17_2_9_wgs_238_tpt_34_halfLds_dp_ip_CI_unitstride_sbrr_C2R_dirReg,@function
fft_rtc_back_len306_factors_17_2_9_wgs_238_tpt_34_halfLds_dp_ip_CI_unitstride_sbrr_C2R_dirReg: ; @fft_rtc_back_len306_factors_17_2_9_wgs_238_tpt_34_halfLds_dp_ip_CI_unitstride_sbrr_C2R_dirReg
; %bb.0:
	s_load_dwordx2 s[12:13], s[4:5], 0x50
	s_load_dwordx4 s[8:11], s[4:5], 0x0
	s_load_dwordx2 s[2:3], s[4:5], 0x18
	v_mul_u32_u24_e32 v1, 0x788, v0
	v_lshrrev_b32_e32 v1, 16, v1
	v_mad_u64_u32 v[1:2], s[0:1], s6, 7, v[1:2]
	v_mov_b32_e32 v5, 0
	s_waitcnt lgkmcnt(0)
	v_cmp_lt_u64_e64 s[0:1], s[10:11], 2
	v_mov_b32_e32 v2, v5
	v_mov_b32_e32 v3, 0
	;; [unrolled: 1-line block ×3, first 2 shown]
	s_and_b64 vcc, exec, s[0:1]
	v_mov_b32_e32 v4, 0
	v_mov_b32_e32 v9, v1
	s_cbranch_vccnz .LBB0_8
; %bb.1:
	s_load_dwordx2 s[0:1], s[4:5], 0x10
	s_add_u32 s6, s2, 8
	s_addc_u32 s7, s3, 0
	v_mov_b32_e32 v3, 0
	v_mov_b32_e32 v8, v2
	s_waitcnt lgkmcnt(0)
	s_add_u32 s16, s0, 8
	s_mov_b64 s[14:15], 1
	v_mov_b32_e32 v4, 0
	s_addc_u32 s17, s1, 0
	v_mov_b32_e32 v7, v1
.LBB0_2:                                ; =>This Inner Loop Header: Depth=1
	s_load_dwordx2 s[18:19], s[16:17], 0x0
                                        ; implicit-def: $vgpr9_vgpr10
	s_waitcnt lgkmcnt(0)
	v_or_b32_e32 v6, s19, v8
	v_cmp_ne_u64_e32 vcc, 0, v[5:6]
	s_and_saveexec_b64 s[0:1], vcc
	s_xor_b64 s[20:21], exec, s[0:1]
	s_cbranch_execz .LBB0_4
; %bb.3:                                ;   in Loop: Header=BB0_2 Depth=1
	v_cvt_f32_u32_e32 v2, s18
	v_cvt_f32_u32_e32 v6, s19
	s_sub_u32 s0, 0, s18
	s_subb_u32 s1, 0, s19
	v_mac_f32_e32 v2, 0x4f800000, v6
	v_rcp_f32_e32 v2, v2
	v_mul_f32_e32 v2, 0x5f7ffffc, v2
	v_mul_f32_e32 v6, 0x2f800000, v2
	v_trunc_f32_e32 v6, v6
	v_mac_f32_e32 v2, 0xcf800000, v6
	v_cvt_u32_f32_e32 v6, v6
	v_cvt_u32_f32_e32 v2, v2
	v_mul_lo_u32 v9, s0, v6
	v_mul_hi_u32 v10, s0, v2
	v_mul_lo_u32 v12, s1, v2
	v_mul_lo_u32 v11, s0, v2
	v_add_u32_e32 v9, v10, v9
	v_add_u32_e32 v9, v9, v12
	v_mul_hi_u32 v10, v2, v11
	v_mul_lo_u32 v12, v2, v9
	v_mul_hi_u32 v14, v2, v9
	v_mul_hi_u32 v13, v6, v11
	v_mul_lo_u32 v11, v6, v11
	v_mul_hi_u32 v15, v6, v9
	v_add_co_u32_e32 v10, vcc, v10, v12
	v_addc_co_u32_e32 v12, vcc, 0, v14, vcc
	v_mul_lo_u32 v9, v6, v9
	v_add_co_u32_e32 v10, vcc, v10, v11
	v_addc_co_u32_e32 v10, vcc, v12, v13, vcc
	v_addc_co_u32_e32 v11, vcc, 0, v15, vcc
	v_add_co_u32_e32 v9, vcc, v10, v9
	v_addc_co_u32_e32 v10, vcc, 0, v11, vcc
	v_add_co_u32_e32 v2, vcc, v2, v9
	v_addc_co_u32_e32 v6, vcc, v6, v10, vcc
	v_mul_lo_u32 v9, s0, v6
	v_mul_hi_u32 v10, s0, v2
	v_mul_lo_u32 v11, s1, v2
	v_mul_lo_u32 v12, s0, v2
	v_add_u32_e32 v9, v10, v9
	v_add_u32_e32 v9, v9, v11
	v_mul_lo_u32 v13, v2, v9
	v_mul_hi_u32 v14, v2, v12
	v_mul_hi_u32 v15, v2, v9
	;; [unrolled: 1-line block ×3, first 2 shown]
	v_mul_lo_u32 v12, v6, v12
	v_mul_hi_u32 v10, v6, v9
	v_add_co_u32_e32 v13, vcc, v14, v13
	v_addc_co_u32_e32 v14, vcc, 0, v15, vcc
	v_mul_lo_u32 v9, v6, v9
	v_add_co_u32_e32 v12, vcc, v13, v12
	v_addc_co_u32_e32 v11, vcc, v14, v11, vcc
	v_addc_co_u32_e32 v10, vcc, 0, v10, vcc
	v_add_co_u32_e32 v9, vcc, v11, v9
	v_addc_co_u32_e32 v10, vcc, 0, v10, vcc
	v_add_co_u32_e32 v2, vcc, v2, v9
	v_addc_co_u32_e32 v6, vcc, v6, v10, vcc
	v_mad_u64_u32 v[9:10], s[0:1], v7, v6, 0
	v_mul_hi_u32 v11, v7, v2
	v_add_co_u32_e32 v13, vcc, v11, v9
	v_addc_co_u32_e32 v14, vcc, 0, v10, vcc
	v_mad_u64_u32 v[9:10], s[0:1], v8, v2, 0
	v_mad_u64_u32 v[11:12], s[0:1], v8, v6, 0
	v_add_co_u32_e32 v2, vcc, v13, v9
	v_addc_co_u32_e32 v2, vcc, v14, v10, vcc
	v_addc_co_u32_e32 v6, vcc, 0, v12, vcc
	v_add_co_u32_e32 v2, vcc, v2, v11
	v_addc_co_u32_e32 v6, vcc, 0, v6, vcc
	v_mul_lo_u32 v11, s19, v2
	v_mul_lo_u32 v12, s18, v6
	v_mad_u64_u32 v[9:10], s[0:1], s18, v2, 0
	v_add3_u32 v10, v10, v12, v11
	v_sub_u32_e32 v11, v8, v10
	v_mov_b32_e32 v12, s19
	v_sub_co_u32_e32 v9, vcc, v7, v9
	v_subb_co_u32_e64 v11, s[0:1], v11, v12, vcc
	v_subrev_co_u32_e64 v12, s[0:1], s18, v9
	v_subbrev_co_u32_e64 v11, s[0:1], 0, v11, s[0:1]
	v_cmp_le_u32_e64 s[0:1], s19, v11
	v_cndmask_b32_e64 v13, 0, -1, s[0:1]
	v_cmp_le_u32_e64 s[0:1], s18, v12
	v_cndmask_b32_e64 v12, 0, -1, s[0:1]
	v_cmp_eq_u32_e64 s[0:1], s19, v11
	v_cndmask_b32_e64 v11, v13, v12, s[0:1]
	v_add_co_u32_e64 v12, s[0:1], 2, v2
	v_addc_co_u32_e64 v13, s[0:1], 0, v6, s[0:1]
	v_add_co_u32_e64 v14, s[0:1], 1, v2
	v_addc_co_u32_e64 v15, s[0:1], 0, v6, s[0:1]
	v_subb_co_u32_e32 v10, vcc, v8, v10, vcc
	v_cmp_ne_u32_e64 s[0:1], 0, v11
	v_cmp_le_u32_e32 vcc, s19, v10
	v_cndmask_b32_e64 v11, v15, v13, s[0:1]
	v_cndmask_b32_e64 v13, 0, -1, vcc
	v_cmp_le_u32_e32 vcc, s18, v9
	v_cndmask_b32_e64 v9, 0, -1, vcc
	v_cmp_eq_u32_e32 vcc, s19, v10
	v_cndmask_b32_e32 v9, v13, v9, vcc
	v_cmp_ne_u32_e32 vcc, 0, v9
	v_cndmask_b32_e32 v10, v6, v11, vcc
	v_cndmask_b32_e64 v6, v14, v12, s[0:1]
	v_cndmask_b32_e32 v9, v2, v6, vcc
.LBB0_4:                                ;   in Loop: Header=BB0_2 Depth=1
	s_andn2_saveexec_b64 s[0:1], s[20:21]
	s_cbranch_execz .LBB0_6
; %bb.5:                                ;   in Loop: Header=BB0_2 Depth=1
	v_cvt_f32_u32_e32 v2, s18
	s_sub_i32 s20, 0, s18
	v_rcp_iflag_f32_e32 v2, v2
	v_mul_f32_e32 v2, 0x4f7ffffe, v2
	v_cvt_u32_f32_e32 v2, v2
	v_mul_lo_u32 v6, s20, v2
	v_mul_hi_u32 v6, v2, v6
	v_add_u32_e32 v2, v2, v6
	v_mul_hi_u32 v2, v7, v2
	v_mul_lo_u32 v6, v2, s18
	v_add_u32_e32 v9, 1, v2
	v_sub_u32_e32 v6, v7, v6
	v_subrev_u32_e32 v10, s18, v6
	v_cmp_le_u32_e32 vcc, s18, v6
	v_cndmask_b32_e32 v6, v6, v10, vcc
	v_cndmask_b32_e32 v2, v2, v9, vcc
	v_add_u32_e32 v9, 1, v2
	v_cmp_le_u32_e32 vcc, s18, v6
	v_cndmask_b32_e32 v9, v2, v9, vcc
	v_mov_b32_e32 v10, v5
.LBB0_6:                                ;   in Loop: Header=BB0_2 Depth=1
	s_or_b64 exec, exec, s[0:1]
	v_mul_lo_u32 v2, v10, s18
	v_mul_lo_u32 v6, v9, s19
	v_mad_u64_u32 v[11:12], s[0:1], v9, s18, 0
	s_load_dwordx2 s[0:1], s[6:7], 0x0
	s_add_u32 s14, s14, 1
	v_add3_u32 v2, v12, v6, v2
	v_sub_co_u32_e32 v6, vcc, v7, v11
	v_subb_co_u32_e32 v2, vcc, v8, v2, vcc
	s_waitcnt lgkmcnt(0)
	v_mul_lo_u32 v2, s0, v2
	v_mul_lo_u32 v7, s1, v6
	v_mad_u64_u32 v[3:4], s[0:1], s0, v6, v[3:4]
	s_addc_u32 s15, s15, 0
	s_add_u32 s6, s6, 8
	v_add3_u32 v4, v7, v4, v2
	v_mov_b32_e32 v6, s10
	v_mov_b32_e32 v7, s11
	s_addc_u32 s7, s7, 0
	v_cmp_ge_u64_e32 vcc, s[14:15], v[6:7]
	s_add_u32 s16, s16, 8
	s_addc_u32 s17, s17, 0
	s_cbranch_vccnz .LBB0_8
; %bb.7:                                ;   in Loop: Header=BB0_2 Depth=1
	v_mov_b32_e32 v7, v9
	v_mov_b32_e32 v8, v10
	s_branch .LBB0_2
.LBB0_8:
	s_lshl_b64 s[0:1], s[10:11], 3
	s_add_u32 s0, s2, s0
	s_addc_u32 s1, s3, s1
	s_load_dwordx2 s[2:3], s[0:1], 0x0
	s_load_dwordx2 s[6:7], s[4:5], 0x20
	s_mov_b32 s0, 0x24924925
	v_mul_hi_u32 v5, v1, s0
	s_waitcnt lgkmcnt(0)
	v_mad_u64_u32 v[2:3], s[0:1], s2, v9, v[3:4]
	v_sub_u32_e32 v4, v1, v5
	v_lshrrev_b32_e32 v4, 1, v4
	v_add_u32_e32 v4, v4, v5
	v_lshrrev_b32_e32 v4, 2, v4
	v_mul_lo_u32 v6, s2, v10
	v_mul_lo_u32 v7, s3, v9
	;; [unrolled: 1-line block ×3, first 2 shown]
	s_mov_b32 s0, 0x7878788
	v_mul_hi_u32 v5, v0, s0
	v_add3_u32 v3, v7, v3, v6
	v_sub_u32_e32 v1, v1, v4
	v_mul_u32_u24_e32 v1, 0x133, v1
	v_cmp_gt_u64_e64 s[0:1], s[6:7], v[9:10]
	v_mul_u32_u24_e32 v4, 34, v5
	v_lshlrev_b64 v[110:111], 4, v[2:3]
	v_sub_u32_e32 v108, v0, v4
	v_lshlrev_b32_e32 v178, 4, v1
	s_and_saveexec_b64 s[2:3], s[0:1]
	s_cbranch_execz .LBB0_12
; %bb.9:
	v_mov_b32_e32 v109, 0
	v_mov_b32_e32 v0, s13
	v_add_co_u32_e32 v2, vcc, s12, v110
	v_lshlrev_b64 v[3:4], 4, v[108:109]
	v_addc_co_u32_e32 v0, vcc, v0, v111, vcc
	v_add_co_u32_e32 v36, vcc, v2, v3
	v_addc_co_u32_e32 v37, vcc, v0, v4, vcc
	global_load_dwordx4 v[4:7], v[36:37], off
	global_load_dwordx4 v[8:11], v[36:37], off offset:544
	global_load_dwordx4 v[12:15], v[36:37], off offset:1088
	;; [unrolled: 1-line block ×7, first 2 shown]
	v_add_co_u32_e32 v36, vcc, 0x1000, v36
	v_addc_co_u32_e32 v37, vcc, 0, v37, vcc
	global_load_dwordx4 v[36:39], v[36:37], off offset:256
	v_lshlrev_b32_e32 v3, 4, v108
	v_add3_u32 v3, 0, v178, v3
	v_cmp_eq_u32_e32 vcc, 33, v108
	s_waitcnt vmcnt(8)
	ds_write_b128 v3, v[4:7]
	s_waitcnt vmcnt(7)
	ds_write_b128 v3, v[8:11] offset:544
	s_waitcnt vmcnt(6)
	ds_write_b128 v3, v[12:15] offset:1088
	;; [unrolled: 2-line block ×8, first 2 shown]
	s_and_saveexec_b64 s[4:5], vcc
	s_cbranch_execz .LBB0_11
; %bb.10:
	v_add_co_u32_e32 v4, vcc, 0x1000, v2
	v_addc_co_u32_e32 v5, vcc, 0, v0, vcc
	global_load_dwordx4 v[4:7], v[4:5], off offset:800
	v_mov_b32_e32 v108, 33
	s_waitcnt vmcnt(0)
	ds_write_b128 v3, v[4:7] offset:4368
.LBB0_11:
	s_or_b64 exec, exec, s[4:5]
.LBB0_12:
	s_or_b64 exec, exec, s[2:3]
	v_lshl_add_u32 v176, v1, 4, 0
	v_lshlrev_b32_e32 v6, 4, v108
	v_add_u32_e32 v177, v176, v6
	s_waitcnt lgkmcnt(0)
	s_barrier
	v_sub_u32_e32 v7, v176, v6
	ds_read_b64 v[2:3], v177
	ds_read_b64 v[4:5], v7 offset:4896
	s_add_u32 s4, s8, 0x1210
	s_addc_u32 s5, s9, 0
	v_cmp_ne_u32_e32 vcc, 0, v108
	s_waitcnt lgkmcnt(0)
	v_add_f64 v[0:1], v[2:3], v[4:5]
	v_add_f64 v[2:3], v[2:3], -v[4:5]
                                        ; implicit-def: $vgpr4_vgpr5
	s_and_saveexec_b64 s[2:3], vcc
	s_xor_b64 s[2:3], exec, s[2:3]
	s_cbranch_execz .LBB0_14
; %bb.13:
	v_mov_b32_e32 v109, 0
	v_lshlrev_b64 v[4:5], 4, v[108:109]
	v_mov_b32_e32 v8, s5
	v_add_co_u32_e32 v4, vcc, s4, v4
	v_addc_co_u32_e32 v5, vcc, v8, v5, vcc
	global_load_dwordx4 v[8:11], v[4:5], off
	ds_read_b64 v[4:5], v7 offset:4904
	ds_read_b64 v[12:13], v177 offset:8
	s_waitcnt lgkmcnt(0)
	v_add_f64 v[14:15], v[4:5], v[12:13]
	v_add_f64 v[4:5], v[12:13], -v[4:5]
	s_waitcnt vmcnt(0)
	v_fma_f64 v[12:13], v[2:3], v[10:11], v[0:1]
	v_fma_f64 v[16:17], v[14:15], v[10:11], v[4:5]
	v_fma_f64 v[4:5], v[14:15], v[10:11], -v[4:5]
	v_fma_f64 v[0:1], -v[2:3], v[10:11], v[0:1]
	v_fma_f64 v[10:11], -v[14:15], v[8:9], v[12:13]
	v_fma_f64 v[12:13], v[2:3], v[8:9], v[16:17]
	v_fma_f64 v[2:3], v[2:3], v[8:9], v[4:5]
	;; [unrolled: 1-line block ×3, first 2 shown]
	v_mov_b32_e32 v4, v108
	v_mov_b32_e32 v5, v109
	ds_write_b128 v177, v[10:13]
	ds_write_b128 v7, v[0:3] offset:4896
                                        ; implicit-def: $vgpr0_vgpr1
.LBB0_14:
	s_andn2_saveexec_b64 s[2:3], s[2:3]
	s_cbranch_execz .LBB0_16
; %bb.15:
	ds_write_b128 v177, v[0:3]
	ds_read_b128 v[0:3], v176 offset:2448
	v_mov_b32_e32 v4, 0
	v_mov_b32_e32 v5, 0
	s_waitcnt lgkmcnt(0)
	v_add_f64 v[0:1], v[0:1], v[0:1]
	v_mul_f64 v[2:3], v[2:3], -2.0
	ds_write_b128 v176, v[0:3] offset:2448
.LBB0_16:
	s_or_b64 exec, exec, s[2:3]
	v_lshlrev_b64 v[0:1], 4, v[4:5]
	v_mov_b32_e32 v2, s5
	v_add_co_u32_e32 v0, vcc, s4, v0
	v_addc_co_u32_e32 v1, vcc, v2, v1, vcc
	global_load_dwordx4 v[2:5], v[0:1], off offset:544
	global_load_dwordx4 v[8:11], v[0:1], off offset:1088
	ds_read_b128 v[12:15], v177 offset:544
	ds_read_b128 v[16:19], v7 offset:4352
	global_load_dwordx4 v[20:23], v[0:1], off offset:1632
	v_cmp_gt_u32_e32 vcc, 17, v108
	s_waitcnt lgkmcnt(0)
	v_add_f64 v[24:25], v[12:13], v[16:17]
	v_add_f64 v[26:27], v[18:19], v[14:15]
	v_add_f64 v[28:29], v[12:13], -v[16:17]
	v_add_f64 v[12:13], v[14:15], -v[18:19]
	s_waitcnt vmcnt(2)
	v_fma_f64 v[14:15], v[28:29], v[4:5], v[24:25]
	v_fma_f64 v[16:17], v[26:27], v[4:5], v[12:13]
	v_fma_f64 v[18:19], -v[28:29], v[4:5], v[24:25]
	v_fma_f64 v[4:5], v[26:27], v[4:5], -v[12:13]
	v_fma_f64 v[12:13], -v[26:27], v[2:3], v[14:15]
	v_fma_f64 v[14:15], v[28:29], v[2:3], v[16:17]
	v_fma_f64 v[16:17], v[26:27], v[2:3], v[18:19]
	;; [unrolled: 1-line block ×3, first 2 shown]
	ds_write_b128 v177, v[12:15] offset:544
	ds_write_b128 v7, v[16:19] offset:4352
	ds_read_b128 v[2:5], v177 offset:1088
	ds_read_b128 v[12:15], v7 offset:3808
	s_waitcnt lgkmcnt(0)
	v_add_f64 v[16:17], v[2:3], v[12:13]
	v_add_f64 v[18:19], v[14:15], v[4:5]
	v_add_f64 v[12:13], v[2:3], -v[12:13]
	v_add_f64 v[2:3], v[4:5], -v[14:15]
	s_waitcnt vmcnt(1)
	v_fma_f64 v[4:5], v[12:13], v[10:11], v[16:17]
	v_fma_f64 v[14:15], v[18:19], v[10:11], v[2:3]
	v_fma_f64 v[16:17], -v[12:13], v[10:11], v[16:17]
	v_fma_f64 v[24:25], v[18:19], v[10:11], -v[2:3]
	v_fma_f64 v[2:3], -v[18:19], v[8:9], v[4:5]
	v_fma_f64 v[4:5], v[12:13], v[8:9], v[14:15]
	v_fma_f64 v[10:11], v[18:19], v[8:9], v[16:17]
	;; [unrolled: 1-line block ×3, first 2 shown]
	ds_write_b128 v177, v[2:5] offset:1088
	ds_write_b128 v7, v[10:13] offset:3808
	ds_read_b128 v[2:5], v177 offset:1632
	ds_read_b128 v[8:11], v7 offset:3264
	s_waitcnt lgkmcnt(0)
	v_add_f64 v[12:13], v[2:3], v[8:9]
	v_add_f64 v[14:15], v[10:11], v[4:5]
	v_add_f64 v[16:17], v[2:3], -v[8:9]
	v_add_f64 v[2:3], v[4:5], -v[10:11]
	s_waitcnt vmcnt(0)
	v_fma_f64 v[4:5], v[16:17], v[22:23], v[12:13]
	v_fma_f64 v[8:9], v[14:15], v[22:23], v[2:3]
	v_fma_f64 v[10:11], -v[16:17], v[22:23], v[12:13]
	v_fma_f64 v[12:13], v[14:15], v[22:23], -v[2:3]
	v_fma_f64 v[2:3], -v[14:15], v[20:21], v[4:5]
	v_fma_f64 v[4:5], v[16:17], v[20:21], v[8:9]
	v_fma_f64 v[8:9], v[14:15], v[20:21], v[10:11]
	;; [unrolled: 1-line block ×3, first 2 shown]
	ds_write_b128 v177, v[2:5] offset:1632
	ds_write_b128 v7, v[8:11] offset:3264
	s_and_saveexec_b64 s[2:3], vcc
	s_cbranch_execz .LBB0_18
; %bb.17:
	global_load_dwordx4 v[0:3], v[0:1], off offset:2176
	ds_read_b128 v[8:11], v177 offset:2176
	ds_read_b128 v[12:15], v7 offset:2720
	s_waitcnt lgkmcnt(0)
	v_add_f64 v[4:5], v[8:9], v[12:13]
	v_add_f64 v[16:17], v[14:15], v[10:11]
	v_add_f64 v[12:13], v[8:9], -v[12:13]
	v_add_f64 v[8:9], v[10:11], -v[14:15]
	s_waitcnt vmcnt(0)
	v_fma_f64 v[10:11], v[12:13], v[2:3], v[4:5]
	v_fma_f64 v[14:15], v[16:17], v[2:3], v[8:9]
	v_fma_f64 v[18:19], -v[12:13], v[2:3], v[4:5]
	v_fma_f64 v[20:21], v[16:17], v[2:3], -v[8:9]
	v_fma_f64 v[2:3], -v[16:17], v[0:1], v[10:11]
	v_fma_f64 v[4:5], v[12:13], v[0:1], v[14:15]
	v_fma_f64 v[8:9], v[16:17], v[0:1], v[18:19]
	;; [unrolled: 1-line block ×3, first 2 shown]
	ds_write_b128 v177, v[2:5] offset:2176
	ds_write_b128 v7, v[8:11] offset:2720
.LBB0_18:
	s_or_b64 exec, exec, s[2:3]
	v_add3_u32 v109, 0, v6, v178
	s_waitcnt lgkmcnt(0)
	s_barrier
	s_barrier
	ds_read_b128 v[8:11], v109 offset:4608
	ds_read_b128 v[16:19], v109 offset:288
	ds_read_b128 v[20:23], v177
	ds_read_b128 v[12:15], v109 offset:4320
	ds_read_b128 v[28:31], v109 offset:576
	s_mov_b32 s6, 0xacd6c6b4
	s_waitcnt lgkmcnt(3)
	v_add_f64 v[114:115], v[18:19], -v[10:11]
	s_mov_b32 s7, 0xbfc7851a
	v_add_f64 v[112:113], v[16:17], v[8:9]
	s_waitcnt lgkmcnt(0)
	v_add_f64 v[118:119], v[30:31], -v[14:15]
	v_add_f64 v[120:121], v[18:19], v[10:11]
	s_mov_b32 s4, 0x7faef3
	s_mov_b32 s34, 0x5d8e7cdc
	;; [unrolled: 1-line block ×3, first 2 shown]
	v_mul_f64 v[0:1], v[114:115], s[6:7]
	s_mov_b32 s35, 0x3fd71e95
	v_add_f64 v[116:117], v[28:29], v[12:13]
	v_mul_f64 v[4:5], v[118:119], s[34:35]
	v_add_f64 v[146:147], v[16:17], -v[8:9]
	v_mul_f64 v[6:7], v[120:121], s[4:5]
	v_add_f64 v[122:123], v[30:31], v[14:15]
	s_mov_b32 s14, 0x370991
	v_fma_f64 v[2:3], v[112:113], s[4:5], v[0:1]
	s_mov_b32 s15, 0x3fedd6d0
	s_mov_b32 s49, 0x3fc7851a
	;; [unrolled: 1-line block ×3, first 2 shown]
	ds_read_b128 v[32:35], v109 offset:864
	ds_read_b128 v[24:27], v109 offset:4032
	v_fma_f64 v[36:37], v[116:117], s[14:15], v[4:5]
	v_fma_f64 v[38:39], v[146:147], s[48:49], v[6:7]
	v_add_f64 v[148:149], v[28:29], -v[12:13]
	v_add_f64 v[2:3], v[20:21], v[2:3]
	v_mul_f64 v[68:69], v[122:123], s[14:15]
	s_waitcnt lgkmcnt(0)
	v_add_f64 v[124:125], v[34:35], -v[26:27]
	v_add_f64 v[128:129], v[34:35], v[26:27]
	s_mov_b32 s18, 0x4363dd80
	s_mov_b32 s10, 0x910ea3b9
	v_add_f64 v[40:41], v[22:23], v[38:39]
	s_mov_b32 s17, 0xbfd71e95
	v_add_f64 v[2:3], v[36:37], v[2:3]
	ds_read_b128 v[36:39], v109 offset:3744
	ds_read_b128 v[44:47], v109 offset:1152
	s_mov_b32 s16, s34
	s_mov_b32 s19, 0xbfe0d888
	;; [unrolled: 1-line block ×3, first 2 shown]
	v_fma_f64 v[42:43], v[148:149], s[16:17], v[68:69]
	v_add_f64 v[126:127], v[32:33], v[24:25]
	v_mul_f64 v[70:71], v[124:125], s[18:19]
	v_add_f64 v[134:135], v[32:33], -v[24:25]
	v_mul_f64 v[72:73], v[128:129], s[10:11]
	s_waitcnt lgkmcnt(0)
	v_add_f64 v[140:141], v[46:47], -v[38:39]
	s_mov_b32 s52, 0x2a9d6da3
	s_mov_b32 s47, 0x3fe0d888
	;; [unrolled: 1-line block ×4, first 2 shown]
	v_add_f64 v[52:53], v[42:43], v[40:41]
	v_fma_f64 v[54:55], v[126:127], s[10:11], v[70:71]
	v_fma_f64 v[56:57], v[134:135], s[46:47], v[72:73]
	v_add_f64 v[130:131], v[44:45], v[36:37]
	v_mul_f64 v[74:75], v[140:141], s[52:53]
	v_fma_f64 v[0:1], v[112:113], s[4:5], -v[0:1]
	v_fma_f64 v[6:7], v[146:147], s[6:7], v[6:7]
	s_mov_b32 s22, 0x75d4884
	s_mov_b32 s23, 0x3fe7a5f6
	ds_read_b128 v[48:51], v109 offset:1440
	ds_read_b128 v[40:43], v109 offset:3456
	v_add_f64 v[132:133], v[46:47], v[38:39]
	v_add_f64 v[2:3], v[54:55], v[2:3]
	;; [unrolled: 1-line block ×3, first 2 shown]
	v_fma_f64 v[52:53], v[130:131], s[22:23], v[74:75]
	s_waitcnt lgkmcnt(0)
	v_add_f64 v[142:143], v[50:51], -v[42:43]
	v_add_f64 v[0:1], v[20:21], v[0:1]
	v_fma_f64 v[4:5], v[116:117], s[14:15], -v[4:5]
	v_add_f64 v[6:7], v[22:23], v[6:7]
	v_fma_f64 v[68:69], v[148:149], s[34:35], v[68:69]
	v_add_f64 v[144:145], v[44:45], -v[36:37]
	v_mul_f64 v[76:77], v[132:133], s[22:23]
	v_add_f64 v[2:3], v[52:53], v[2:3]
	ds_read_b128 v[52:55], v109 offset:3168
	ds_read_b128 v[56:59], v109 offset:1728
	s_mov_b32 s26, 0x6c9a05f6
	s_mov_b32 s27, 0xbfe9895b
	v_add_f64 v[138:139], v[50:51], v[42:43]
	v_add_f64 v[136:137], v[48:49], v[40:41]
	v_mul_f64 v[78:79], v[142:143], s[26:27]
	s_waitcnt lgkmcnt(0)
	v_add_f64 v[156:157], v[58:59], -v[54:55]
	v_add_f64 v[0:1], v[4:5], v[0:1]
	v_add_f64 v[4:5], v[68:69], v[6:7]
	v_fma_f64 v[6:7], v[126:127], s[10:11], -v[70:71]
	v_fma_f64 v[68:69], v[134:135], s[18:19], v[72:73]
	s_mov_b32 s25, 0xbfe58eea
	s_mov_b32 s24, s52
	v_fma_f64 v[62:63], v[144:145], s[24:25], v[76:77]
	s_mov_b32 s20, 0x6ed5f1bb
	s_mov_b32 s50, 0x7c9e640b
	s_mov_b32 s21, 0xbfe348c8
	s_mov_b32 s51, 0x3feca52d
	v_add_f64 v[154:155], v[48:49], -v[40:41]
	v_mul_f64 v[80:81], v[138:139], s[20:21]
	v_fma_f64 v[84:85], v[136:137], s[20:21], v[78:79]
	v_add_f64 v[152:153], v[58:59], v[54:55]
	v_add_f64 v[150:151], v[56:57], v[52:53]
	v_mul_f64 v[88:89], v[156:157], s[50:51]
	v_add_f64 v[0:1], v[6:7], v[0:1]
	v_add_f64 v[4:5], v[68:69], v[4:5]
	v_fma_f64 v[6:7], v[130:131], s[22:23], -v[74:75]
	v_fma_f64 v[76:77], v[144:145], s[52:53], v[76:77]
	v_add_f64 v[82:83], v[62:63], v[60:61]
	ds_read_b128 v[64:67], v109 offset:2016
	ds_read_b128 v[60:63], v109 offset:2880
	s_mov_b32 s30, 0x2b2883cd
	s_mov_b32 s57, 0x3fe9895b
	;; [unrolled: 1-line block ×4, first 2 shown]
	v_fma_f64 v[86:87], v[154:155], s[56:57], v[80:81]
	v_add_f64 v[160:161], v[56:57], -v[52:53]
	v_mul_f64 v[90:91], v[152:153], s[30:31]
	v_add_f64 v[2:3], v[84:85], v[2:3]
	v_fma_f64 v[84:85], v[150:151], s[30:31], v[88:89]
	s_waitcnt lgkmcnt(0)
	v_add_f64 v[168:169], v[66:67], -v[62:63]
	v_add_f64 v[162:163], v[66:67], v[62:63]
	v_add_f64 v[0:1], v[6:7], v[0:1]
	;; [unrolled: 1-line block ×3, first 2 shown]
	v_fma_f64 v[6:7], v[136:137], s[20:21], -v[78:79]
	v_fma_f64 v[76:77], v[154:155], s[26:27], v[80:81]
	ds_read_b128 v[72:75], v109 offset:2304
	ds_read_b128 v[68:71], v109 offset:2592
	s_mov_b32 s40, 0x923c349f
	s_mov_b32 s36, 0xc61f0d01
	;; [unrolled: 1-line block ×6, first 2 shown]
	v_add_f64 v[82:83], v[86:87], v[82:83]
	v_fma_f64 v[86:87], v[160:161], s[38:39], v[90:91]
	v_add_f64 v[2:3], v[84:85], v[2:3]
	v_add_f64 v[158:159], v[64:65], v[60:61]
	v_mul_f64 v[84:85], v[168:169], s[40:41]
	v_add_f64 v[170:171], v[64:65], -v[60:61]
	v_mul_f64 v[92:93], v[162:163], s[36:37]
	s_waitcnt lgkmcnt(0)
	v_add_f64 v[172:173], v[74:75], -v[70:71]
	v_add_f64 v[164:165], v[74:75], v[70:71]
	v_add_f64 v[0:1], v[6:7], v[0:1]
	;; [unrolled: 1-line block ×3, first 2 shown]
	v_fma_f64 v[6:7], v[150:151], s[30:31], -v[88:89]
	v_fma_f64 v[76:77], v[160:161], s[50:51], v[90:91]
	s_mov_b32 s58, 0xeb564b22
	s_mov_b32 s42, 0x3259b75e
	;; [unrolled: 1-line block ×6, first 2 shown]
	v_add_f64 v[82:83], v[86:87], v[82:83]
	v_fma_f64 v[86:87], v[158:159], s[36:37], v[84:85]
	v_fma_f64 v[78:79], v[170:171], s[54:55], v[92:93]
	v_add_f64 v[166:167], v[72:73], v[68:69]
	v_mul_f64 v[80:81], v[172:173], s[58:59]
	v_add_f64 v[174:175], v[72:73], -v[68:69]
	v_mul_f64 v[88:89], v[164:165], s[42:43]
	v_add_f64 v[0:1], v[6:7], v[0:1]
	v_add_f64 v[4:5], v[76:77], v[4:5]
	v_fma_f64 v[6:7], v[158:159], s[36:37], -v[84:85]
	v_fma_f64 v[76:77], v[170:171], s[40:41], v[92:93]
	s_mov_b32 s45, 0xbfefdd0d
	s_mov_b32 s44, s58
	v_add_f64 v[2:3], v[86:87], v[2:3]
	v_add_f64 v[78:79], v[78:79], v[82:83]
	v_fma_f64 v[82:83], v[166:167], s[42:43], v[80:81]
	v_fma_f64 v[84:85], v[174:175], s[44:45], v[88:89]
	v_add_f64 v[6:7], v[6:7], v[0:1]
	v_add_f64 v[76:77], v[76:77], v[4:5]
	v_fma_f64 v[4:5], v[166:167], s[42:43], -v[80:81]
	v_fma_f64 v[80:81], v[174:175], s[58:59], v[88:89]
	v_cmp_gt_u32_e64 s[2:3], 18, v108
	v_add_f64 v[0:1], v[82:83], v[2:3]
	v_add_f64 v[2:3], v[84:85], v[78:79]
	s_barrier
	v_add_f64 v[4:5], v[4:5], v[6:7]
	v_add_f64 v[6:7], v[80:81], v[76:77]
	s_and_saveexec_b64 s[28:29], s[2:3]
	s_cbranch_execz .LBB0_20
; %bb.19:
	v_mul_f64 v[76:77], v[146:147], s[18:19]
	v_mul_f64 v[86:87], v[114:115], s[18:19]
	v_mul_f64 v[88:89], v[148:149], s[50:51]
	v_mul_f64 v[100:101], v[118:119], s[50:51]
	v_mul_f64 v[94:95], v[134:135], s[44:45]
	v_mul_f64 v[179:180], v[124:125], s[44:45]
	v_mul_f64 v[90:91], v[144:145], s[56:57]
	v_mul_f64 v[84:85], v[154:155], s[16:17]
	v_fma_f64 v[92:93], v[120:121], s[10:11], v[76:77]
	v_fma_f64 v[102:103], v[112:113], s[10:11], -v[86:87]
	v_fma_f64 v[76:77], v[120:121], s[10:11], -v[76:77]
	v_fma_f64 v[104:105], v[122:123], s[30:31], v[88:89]
	v_fma_f64 v[183:184], v[116:117], s[30:31], -v[100:101]
	v_fma_f64 v[88:89], v[122:123], s[30:31], -v[88:89]
	v_fma_f64 v[181:182], v[128:129], s[42:43], v[94:95]
	v_fma_f64 v[187:188], v[126:127], s[42:43], -v[179:180]
	v_add_f64 v[92:93], v[22:23], v[92:93]
	v_add_f64 v[102:103], v[20:21], v[102:103]
	;; [unrolled: 1-line block ×3, first 2 shown]
	v_fma_f64 v[86:87], v[112:113], s[10:11], v[86:87]
	v_fma_f64 v[94:95], v[128:129], s[42:43], -v[94:95]
	v_mul_f64 v[106:107], v[142:143], s[16:17]
	v_fma_f64 v[185:186], v[132:133], s[20:21], v[90:91]
	v_fma_f64 v[100:101], v[116:117], s[30:31], v[100:101]
	v_add_f64 v[92:93], v[104:105], v[92:93]
	v_mul_f64 v[104:105], v[140:141], s[56:57]
	v_add_f64 v[102:103], v[183:184], v[102:103]
	v_add_f64 v[76:77], v[88:89], v[76:77]
	;; [unrolled: 1-line block ×3, first 2 shown]
	v_fma_f64 v[90:91], v[132:133], s[20:21], -v[90:91]
	v_mul_f64 v[82:83], v[160:161], s[6:7]
	v_mul_f64 v[98:99], v[156:157], s[6:7]
	v_add_f64 v[88:89], v[181:182], v[92:93]
	v_fma_f64 v[181:182], v[130:131], s[20:21], -v[104:105]
	v_add_f64 v[102:103], v[187:188], v[102:103]
	v_add_f64 v[76:77], v[94:95], v[76:77]
	v_fma_f64 v[92:93], v[138:139], s[14:15], v[84:85]
	v_fma_f64 v[183:184], v[136:137], s[14:15], -v[106:107]
	v_fma_f64 v[179:180], v[126:127], s[42:43], v[179:180]
	v_add_f64 v[86:87], v[100:101], v[86:87]
	v_add_f64 v[88:89], v[185:186], v[88:89]
	v_fma_f64 v[84:85], v[138:139], s[14:15], -v[84:85]
	v_add_f64 v[100:101], v[181:182], v[102:103]
	v_add_f64 v[76:77], v[90:91], v[76:77]
	v_mul_f64 v[80:81], v[170:171], s[52:53]
	v_mul_f64 v[96:97], v[168:169], s[52:53]
	v_fma_f64 v[94:95], v[152:153], s[4:5], v[82:83]
	v_fma_f64 v[102:103], v[130:131], s[20:21], v[104:105]
	v_add_f64 v[88:89], v[92:93], v[88:89]
	v_fma_f64 v[92:93], v[150:151], s[4:5], -v[98:99]
	v_add_f64 v[86:87], v[179:180], v[86:87]
	v_add_f64 v[100:101], v[183:184], v[100:101]
	v_fma_f64 v[82:83], v[152:153], s[4:5], -v[82:83]
	v_add_f64 v[76:77], v[84:85], v[76:77]
	v_mul_f64 v[78:79], v[174:175], s[40:41]
	v_fma_f64 v[90:91], v[162:163], s[22:23], v[80:81]
	v_add_f64 v[84:85], v[94:95], v[88:89]
	v_fma_f64 v[94:95], v[158:159], s[22:23], -v[96:97]
	v_fma_f64 v[104:105], v[136:137], s[14:15], v[106:107]
	v_add_f64 v[86:87], v[102:103], v[86:87]
	v_add_f64 v[92:93], v[92:93], v[100:101]
	v_fma_f64 v[80:81], v[162:163], s[22:23], -v[80:81]
	v_add_f64 v[76:77], v[82:83], v[76:77]
	v_mul_f64 v[88:89], v[172:173], s[40:41]
	v_fma_f64 v[82:83], v[164:165], s[36:37], v[78:79]
	v_add_f64 v[84:85], v[90:91], v[84:85]
	v_fma_f64 v[98:99], v[150:151], s[4:5], v[98:99]
	v_add_f64 v[86:87], v[104:105], v[86:87]
	v_add_f64 v[92:93], v[94:95], v[92:93]
	v_fma_f64 v[94:95], v[164:165], s[36:37], -v[78:79]
	v_add_f64 v[80:81], v[80:81], v[76:77]
	v_fma_f64 v[90:91], v[166:167], s[36:37], -v[88:89]
	v_fma_f64 v[96:97], v[158:159], s[22:23], v[96:97]
	v_add_f64 v[78:79], v[82:83], v[84:85]
	v_mul_f64 v[106:107], v[118:119], s[54:55]
	v_add_f64 v[86:87], v[98:99], v[86:87]
	v_mul_f64 v[181:182], v[134:135], s[16:17]
	v_mul_f64 v[185:186], v[144:145], s[18:19]
	v_add_f64 v[82:83], v[94:95], v[80:81]
	v_mul_f64 v[80:81], v[146:147], s[26:27]
	v_add_f64 v[76:77], v[90:91], v[92:93]
	v_mul_f64 v[92:93], v[114:115], s[26:27]
	v_mul_f64 v[189:190], v[124:125], s[16:17]
	v_add_f64 v[86:87], v[96:97], v[86:87]
	v_mul_f64 v[96:97], v[148:149], s[54:55]
	v_fma_f64 v[191:192], v[116:117], s[36:37], -v[106:107]
	v_fma_f64 v[193:194], v[128:129], s[14:15], v[181:182]
	v_fma_f64 v[98:99], v[120:121], s[20:21], v[80:81]
	v_fma_f64 v[80:81], v[120:121], s[20:21], -v[80:81]
	v_fma_f64 v[179:180], v[112:113], s[20:21], -v[92:93]
	v_mul_f64 v[102:103], v[154:155], s[58:59]
	v_mul_f64 v[195:196], v[140:141], s[18:19]
	v_fma_f64 v[183:184], v[122:123], s[36:37], v[96:97]
	v_fma_f64 v[197:198], v[126:127], s[14:15], -v[189:190]
	v_fma_f64 v[92:93], v[112:113], s[20:21], v[92:93]
	v_add_f64 v[98:99], v[22:23], v[98:99]
	v_fma_f64 v[96:97], v[122:123], s[36:37], -v[96:97]
	v_add_f64 v[179:180], v[20:21], v[179:180]
	v_add_f64 v[80:81], v[22:23], v[80:81]
	v_mul_f64 v[90:91], v[160:161], s[24:25]
	v_fma_f64 v[187:188], v[138:139], s[42:43], v[102:103]
	v_fma_f64 v[106:107], v[116:117], s[36:37], v[106:107]
	v_add_f64 v[92:93], v[20:21], v[92:93]
	v_add_f64 v[98:99], v[183:184], v[98:99]
	v_fma_f64 v[183:184], v[132:133], s[10:11], v[185:186]
	v_add_f64 v[179:180], v[191:192], v[179:180]
	v_mul_f64 v[191:192], v[142:143], s[58:59]
	v_fma_f64 v[181:182], v[128:129], s[14:15], -v[181:182]
	v_add_f64 v[80:81], v[96:97], v[80:81]
	v_mul_f64 v[84:85], v[170:171], s[6:7]
	v_fma_f64 v[104:105], v[152:153], s[22:23], v[90:91]
	v_add_f64 v[98:99], v[193:194], v[98:99]
	v_fma_f64 v[193:194], v[130:131], s[10:11], -v[195:196]
	v_add_f64 v[179:180], v[197:198], v[179:180]
	v_fma_f64 v[189:190], v[126:127], s[14:15], v[189:190]
	v_add_f64 v[92:93], v[106:107], v[92:93]
	v_add_f64 v[80:81], v[181:182], v[80:81]
	v_mul_f64 v[94:95], v[174:175], s[50:51]
	v_fma_f64 v[100:101], v[162:163], s[4:5], v[84:85]
	v_add_f64 v[96:97], v[183:184], v[98:99]
	v_mul_f64 v[98:99], v[156:157], s[24:25]
	v_fma_f64 v[183:184], v[136:137], s[42:43], -v[191:192]
	v_add_f64 v[106:107], v[193:194], v[179:180]
	v_fma_f64 v[179:180], v[132:133], s[10:11], -v[185:186]
	v_mul_f64 v[181:182], v[168:169], s[6:7]
	v_add_f64 v[92:93], v[189:190], v[92:93]
	v_fma_f64 v[102:103], v[138:139], s[42:43], -v[102:103]
	v_add_f64 v[96:97], v[187:188], v[96:97]
	v_fma_f64 v[185:186], v[150:151], s[22:23], -v[98:99]
	v_fma_f64 v[187:188], v[130:131], s[10:11], v[195:196]
	v_add_f64 v[106:107], v[183:184], v[106:107]
	v_add_f64 v[80:81], v[179:180], v[80:81]
	v_fma_f64 v[88:89], v[166:167], s[36:37], v[88:89]
	v_fma_f64 v[179:180], v[158:159], s[4:5], -v[181:182]
	v_fma_f64 v[183:184], v[136:137], s[42:43], v[191:192]
	v_add_f64 v[96:97], v[104:105], v[96:97]
	v_mul_f64 v[104:105], v[172:173], s[50:51]
	v_add_f64 v[92:93], v[187:188], v[92:93]
	v_add_f64 v[106:107], v[185:186], v[106:107]
	v_fma_f64 v[90:91], v[152:153], s[22:23], -v[90:91]
	v_add_f64 v[80:81], v[102:103], v[80:81]
	v_fma_f64 v[102:103], v[164:165], s[30:31], v[94:95]
	v_fma_f64 v[98:99], v[150:151], s[22:23], v[98:99]
	v_add_f64 v[96:97], v[100:101], v[96:97]
	v_fma_f64 v[100:101], v[166:167], s[30:31], -v[104:105]
	v_add_f64 v[92:93], v[183:184], v[92:93]
	v_add_f64 v[106:107], v[179:180], v[106:107]
	v_fma_f64 v[179:180], v[162:163], s[4:5], -v[84:85]
	v_add_f64 v[90:91], v[90:91], v[80:81]
	v_add_f64 v[80:81], v[88:89], v[86:87]
	v_fma_f64 v[88:89], v[158:159], s[4:5], v[181:182]
	v_add_f64 v[86:87], v[102:103], v[96:97]
	v_mul_f64 v[96:97], v[146:147], s[40:41]
	v_add_f64 v[92:93], v[98:99], v[92:93]
	v_add_f64 v[84:85], v[100:101], v[106:107]
	v_mul_f64 v[98:99], v[114:115], s[40:41]
	v_mul_f64 v[100:101], v[148:149], s[46:47]
	v_fma_f64 v[102:103], v[166:167], s[30:31], v[104:105]
	v_add_f64 v[90:91], v[179:180], v[90:91]
	v_mul_f64 v[179:180], v[118:119], s[46:47]
	v_fma_f64 v[104:105], v[120:121], s[36:37], v[96:97]
	v_add_f64 v[88:89], v[88:89], v[92:93]
	v_mul_f64 v[92:93], v[134:135], s[52:53]
	v_fma_f64 v[181:182], v[112:113], s[36:37], -v[98:99]
	v_fma_f64 v[183:184], v[122:123], s[10:11], v[100:101]
	v_fma_f64 v[96:97], v[120:121], s[36:37], -v[96:97]
	v_mul_f64 v[185:186], v[144:145], s[38:39]
	v_mul_f64 v[189:190], v[124:125], s[52:53]
	v_add_f64 v[104:105], v[22:23], v[104:105]
	v_fma_f64 v[191:192], v[116:117], s[10:11], -v[179:180]
	v_fma_f64 v[187:188], v[128:129], s[22:23], v[92:93]
	v_add_f64 v[181:182], v[20:21], v[181:182]
	v_fma_f64 v[100:101], v[122:123], s[10:11], -v[100:101]
	v_add_f64 v[96:97], v[22:23], v[96:97]
	v_fma_f64 v[193:194], v[132:133], s[30:31], v[185:186]
	v_mul_f64 v[195:196], v[140:141], s[38:39]
	v_add_f64 v[104:105], v[183:184], v[104:105]
	v_mul_f64 v[183:184], v[154:155], s[6:7]
	v_fma_f64 v[197:198], v[126:127], s[22:23], -v[189:190]
	v_add_f64 v[181:182], v[191:192], v[181:182]
	v_fma_f64 v[92:93], v[128:129], s[22:23], -v[92:93]
	v_add_f64 v[96:97], v[100:101], v[96:97]
	v_mul_f64 v[191:192], v[142:143], s[6:7]
	v_fma_f64 v[199:200], v[130:131], s[30:31], -v[195:196]
	v_add_f64 v[100:101], v[187:188], v[104:105]
	v_mul_f64 v[104:105], v[160:161], s[58:59]
	v_fma_f64 v[187:188], v[138:139], s[4:5], v[183:184]
	v_add_f64 v[181:182], v[197:198], v[181:182]
	v_fma_f64 v[185:186], v[132:133], s[30:31], -v[185:186]
	v_add_f64 v[92:93], v[92:93], v[96:97]
	v_mul_f64 v[197:198], v[156:157], s[58:59]
	v_fma_f64 v[201:202], v[136:137], s[4:5], -v[191:192]
	v_add_f64 v[96:97], v[193:194], v[100:101]
	v_mul_f64 v[100:101], v[170:171], s[16:17]
	v_fma_f64 v[193:194], v[152:153], s[42:43], v[104:105]
	v_add_f64 v[181:182], v[199:200], v[181:182]
	v_fma_f64 v[183:184], v[138:139], s[4:5], -v[183:184]
	v_add_f64 v[92:93], v[185:186], v[92:93]
	v_fma_f64 v[98:99], v[112:113], s[36:37], v[98:99]
	v_mul_f64 v[106:107], v[174:175], s[26:27]
	v_add_f64 v[96:97], v[187:188], v[96:97]
	v_fma_f64 v[185:186], v[162:163], s[14:15], v[100:101]
	v_mul_f64 v[187:188], v[168:169], s[16:17]
	v_fma_f64 v[199:200], v[150:151], s[42:43], -v[197:198]
	v_add_f64 v[181:182], v[201:202], v[181:182]
	v_fma_f64 v[104:105], v[152:153], s[42:43], -v[104:105]
	v_add_f64 v[92:93], v[183:184], v[92:93]
	v_fma_f64 v[179:180], v[116:117], s[10:11], v[179:180]
	v_add_f64 v[96:97], v[193:194], v[96:97]
	v_add_f64 v[98:99], v[20:21], v[98:99]
	v_fma_f64 v[94:95], v[164:165], s[30:31], -v[94:95]
	v_mul_f64 v[183:184], v[172:173], s[26:27]
	v_fma_f64 v[193:194], v[158:159], s[14:15], -v[187:188]
	v_add_f64 v[181:182], v[199:200], v[181:182]
	v_fma_f64 v[100:101], v[162:163], s[14:15], -v[100:101]
	v_add_f64 v[92:93], v[104:105], v[92:93]
	v_fma_f64 v[104:105], v[164:165], s[20:21], v[106:107]
	v_add_f64 v[96:97], v[185:186], v[96:97]
	v_fma_f64 v[189:190], v[126:127], s[22:23], v[189:190]
	v_add_f64 v[98:99], v[179:180], v[98:99]
	v_fma_f64 v[185:186], v[166:167], s[20:21], -v[183:184]
	v_add_f64 v[179:180], v[193:194], v[181:182]
	v_fma_f64 v[106:107], v[164:165], s[20:21], -v[106:107]
	v_add_f64 v[100:101], v[100:101], v[92:93]
	v_add_f64 v[94:95], v[94:95], v[90:91]
	;; [unrolled: 1-line block ×3, first 2 shown]
	v_fma_f64 v[102:103], v[130:131], s[30:31], v[195:196]
	v_mul_f64 v[181:182], v[146:147], s[44:45]
	v_add_f64 v[189:190], v[189:190], v[98:99]
	v_add_f64 v[90:91], v[104:105], v[96:97]
	v_mul_f64 v[96:97], v[114:115], s[44:45]
	v_add_f64 v[88:89], v[185:186], v[179:180]
	v_add_f64 v[98:99], v[106:107], v[100:101]
	v_fma_f64 v[100:101], v[136:137], s[4:5], v[191:192]
	v_mul_f64 v[104:105], v[148:149], s[6:7]
	v_fma_f64 v[106:107], v[120:121], s[42:43], v[181:182]
	v_add_f64 v[102:103], v[102:103], v[189:190]
	v_mul_f64 v[185:186], v[118:119], s[6:7]
	v_fma_f64 v[189:190], v[112:113], s[42:43], -v[96:97]
	v_fma_f64 v[179:180], v[166:167], s[20:21], v[183:184]
	v_fma_f64 v[183:184], v[150:151], s[42:43], v[197:198]
	v_mul_f64 v[191:192], v[134:135], s[54:55]
	v_fma_f64 v[193:194], v[122:123], s[4:5], v[104:105]
	v_add_f64 v[106:107], v[22:23], v[106:107]
	v_add_f64 v[100:101], v[100:101], v[102:103]
	v_fma_f64 v[102:103], v[158:159], s[14:15], v[187:188]
	v_mul_f64 v[187:188], v[124:125], s[54:55]
	v_fma_f64 v[195:196], v[116:117], s[4:5], -v[185:186]
	v_add_f64 v[189:190], v[20:21], v[189:190]
	v_mul_f64 v[197:198], v[144:145], s[34:35]
	v_fma_f64 v[199:200], v[128:129], s[36:37], v[191:192]
	v_add_f64 v[106:107], v[193:194], v[106:107]
	v_add_f64 v[100:101], v[183:184], v[100:101]
	v_mul_f64 v[183:184], v[140:141], s[34:35]
	v_fma_f64 v[181:182], v[120:121], s[42:43], -v[181:182]
	v_fma_f64 v[193:194], v[126:127], s[36:37], -v[187:188]
	v_add_f64 v[189:190], v[195:196], v[189:190]
	v_mul_f64 v[195:196], v[154:155], s[38:39]
	v_fma_f64 v[201:202], v[132:133], s[14:15], v[197:198]
	v_add_f64 v[106:107], v[199:200], v[106:107]
	v_mul_f64 v[199:200], v[142:143], s[38:39]
	v_fma_f64 v[104:105], v[122:123], s[4:5], -v[104:105]
	v_add_f64 v[181:182], v[22:23], v[181:182]
	v_fma_f64 v[203:204], v[130:131], s[14:15], -v[183:184]
	v_add_f64 v[189:190], v[193:194], v[189:190]
	v_mul_f64 v[193:194], v[160:161], s[18:19]
	v_fma_f64 v[205:206], v[138:139], s[30:31], v[195:196]
	v_add_f64 v[106:107], v[201:202], v[106:107]
	v_mul_f64 v[201:202], v[156:157], s[18:19]
	v_fma_f64 v[191:192], v[128:129], s[36:37], -v[191:192]
	v_add_f64 v[104:105], v[104:105], v[181:182]
	;; [unrolled: 8-line block ×4, first 2 shown]
	v_fma_f64 v[197:198], v[158:159], s[20:21], -v[205:206]
	v_add_f64 v[181:182], v[191:192], v[181:182]
	v_add_f64 v[100:101], v[102:103], v[100:101]
	v_fma_f64 v[102:103], v[164:165], s[22:23], v[189:190]
	v_add_f64 v[106:107], v[209:210], v[106:107]
	v_fma_f64 v[191:192], v[112:113], s[42:43], v[96:97]
	v_fma_f64 v[193:194], v[152:153], s[10:11], -v[193:194]
	v_add_f64 v[104:105], v[195:196], v[104:105]
	v_fma_f64 v[195:196], v[166:167], s[22:23], -v[207:208]
	v_add_f64 v[181:182], v[197:198], v[181:182]
	v_add_f64 v[96:97], v[179:180], v[100:101]
	v_fma_f64 v[179:180], v[116:117], s[4:5], v[185:186]
	v_mul_f64 v[185:186], v[146:147], s[38:39]
	v_add_f64 v[191:192], v[20:21], v[191:192]
	v_add_f64 v[102:103], v[102:103], v[106:107]
	v_fma_f64 v[106:107], v[126:127], s[36:37], v[187:188]
	v_fma_f64 v[197:198], v[162:163], s[20:21], -v[203:204]
	v_add_f64 v[100:101], v[195:196], v[181:182]
	v_mul_f64 v[181:182], v[148:149], s[26:27]
	v_add_f64 v[104:105], v[193:194], v[104:105]
	v_fma_f64 v[187:188], v[120:121], s[30:31], v[185:186]
	v_add_f64 v[179:180], v[179:180], v[191:192]
	v_mul_f64 v[191:192], v[114:115], s[38:39]
	v_mul_f64 v[193:194], v[134:135], s[48:49]
	v_fma_f64 v[183:184], v[130:131], s[14:15], v[183:184]
	v_mul_f64 v[211:212], v[154:155], s[52:53]
	v_fma_f64 v[195:196], v[122:123], s[20:21], v[181:182]
	v_add_f64 v[104:105], v[197:198], v[104:105]
	v_add_f64 v[187:188], v[22:23], v[187:188]
	;; [unrolled: 1-line block ×3, first 2 shown]
	v_fma_f64 v[179:180], v[166:167], s[22:23], v[207:208]
	v_fma_f64 v[197:198], v[136:137], s[30:31], v[199:200]
	v_mul_f64 v[199:200], v[118:119], s[26:27]
	v_fma_f64 v[203:204], v[112:113], s[30:31], -v[191:192]
	v_mul_f64 v[207:208], v[144:145], s[54:55]
	v_fma_f64 v[209:210], v[128:129], s[4:5], v[193:194]
	v_add_f64 v[187:188], v[195:196], v[187:188]
	v_add_f64 v[106:107], v[183:184], v[106:107]
	v_fma_f64 v[183:184], v[150:151], s[10:11], v[201:202]
	v_mul_f64 v[195:196], v[124:125], s[48:49]
	v_fma_f64 v[201:202], v[116:117], s[20:21], -v[199:200]
	v_add_f64 v[203:204], v[20:21], v[203:204]
	v_fma_f64 v[213:214], v[132:133], s[36:37], v[207:208]
	v_fma_f64 v[215:216], v[138:139], s[22:23], v[211:212]
	v_add_f64 v[187:188], v[209:210], v[187:188]
	v_add_f64 v[106:107], v[197:198], v[106:107]
	v_fma_f64 v[197:198], v[158:159], s[20:21], v[205:206]
	v_mul_f64 v[205:206], v[140:141], s[54:55]
	v_fma_f64 v[209:210], v[126:127], s[4:5], -v[195:196]
	v_add_f64 v[201:202], v[201:202], v[203:204]
	v_mul_f64 v[203:204], v[160:161], s[16:17]
	v_fma_f64 v[185:186], v[120:121], s[30:31], -v[185:186]
	v_add_f64 v[187:188], v[213:214], v[187:188]
	v_fma_f64 v[181:182], v[122:123], s[20:21], -v[181:182]
	v_add_f64 v[106:107], v[183:184], v[106:107]
	v_fma_f64 v[213:214], v[130:131], s[36:37], -v[205:206]
	v_mul_f64 v[183:184], v[142:143], s[52:53]
	v_add_f64 v[201:202], v[209:210], v[201:202]
	v_mul_f64 v[209:210], v[170:171], s[44:45]
	v_fma_f64 v[217:218], v[152:153], s[14:15], v[203:204]
	v_add_f64 v[187:188], v[215:216], v[187:188]
	v_add_f64 v[185:186], v[22:23], v[185:186]
	v_fma_f64 v[193:194], v[128:129], s[4:5], -v[193:194]
	v_fma_f64 v[189:190], v[164:165], s[22:23], -v[189:190]
	v_mul_f64 v[215:216], v[156:157], s[16:17]
	v_add_f64 v[201:202], v[213:214], v[201:202]
	v_mul_f64 v[213:214], v[174:175], s[18:19]
	v_fma_f64 v[221:222], v[162:163], s[42:43], v[209:210]
	v_add_f64 v[187:188], v[217:218], v[187:188]
	v_add_f64 v[181:182], v[181:182], v[185:186]
	v_fma_f64 v[219:220], v[136:137], s[22:23], -v[183:184]
	v_add_f64 v[106:107], v[197:198], v[106:107]
	v_fma_f64 v[207:208], v[132:133], s[36:37], -v[207:208]
	v_mul_f64 v[217:218], v[168:169], s[44:45]
	v_fma_f64 v[197:198], v[164:165], s[10:11], v[213:214]
	v_fma_f64 v[185:186], v[150:151], s[14:15], -v[215:216]
	v_add_f64 v[187:188], v[221:222], v[187:188]
	v_add_f64 v[193:194], v[193:194], v[181:182]
	;; [unrolled: 1-line block ×5, first 2 shown]
	v_fma_f64 v[104:105], v[138:139], s[22:23], -v[211:212]
	v_fma_f64 v[221:222], v[158:159], s[42:43], -v[217:218]
	v_fma_f64 v[191:192], v[112:113], s[30:31], v[191:192]
	v_add_f64 v[106:107], v[197:198], v[187:188]
	v_mul_f64 v[187:188], v[146:147], s[24:25]
	v_add_f64 v[189:190], v[207:208], v[193:194]
	v_add_f64 v[185:186], v[185:186], v[201:202]
	v_fma_f64 v[201:202], v[152:153], s[14:15], -v[203:204]
	v_mul_f64 v[203:204], v[148:149], s[44:45]
	v_fma_f64 v[197:198], v[164:165], s[10:11], -v[213:214]
	v_fma_f64 v[199:200], v[116:117], s[20:21], v[199:200]
	v_add_f64 v[191:192], v[20:21], v[191:192]
	v_fma_f64 v[207:208], v[120:121], s[22:23], v[187:188]
	v_add_f64 v[104:105], v[104:105], v[189:190]
	v_fma_f64 v[189:190], v[162:163], s[42:43], -v[209:210]
	v_mul_f64 v[209:210], v[114:115], s[24:25]
	v_add_f64 v[185:186], v[221:222], v[185:186]
	v_mul_f64 v[211:212], v[134:135], s[26:27]
	v_fma_f64 v[213:214], v[122:123], s[42:43], v[203:204]
	v_add_f64 v[18:19], v[22:23], v[18:19]
	v_add_f64 v[207:208], v[22:23], v[207:208]
	;; [unrolled: 1-line block ×3, first 2 shown]
	v_mul_f64 v[201:202], v[118:119], s[44:45]
	v_fma_f64 v[221:222], v[112:113], s[22:23], -v[209:210]
	v_add_f64 v[16:17], v[20:21], v[16:17]
	v_fma_f64 v[195:196], v[126:127], s[4:5], v[195:196]
	v_add_f64 v[191:192], v[199:200], v[191:192]
	v_mul_f64 v[199:200], v[144:145], s[6:7]
	v_fma_f64 v[223:224], v[128:129], s[20:21], v[211:212]
	v_add_f64 v[207:208], v[213:214], v[207:208]
	v_mul_f64 v[213:214], v[124:125], s[26:27]
	v_fma_f64 v[225:226], v[116:117], s[42:43], -v[201:202]
	v_add_f64 v[221:222], v[20:21], v[221:222]
	v_add_f64 v[18:19], v[18:19], v[30:31]
	;; [unrolled: 1-line block ×4, first 2 shown]
	v_mul_f64 v[195:196], v[154:155], s[46:47]
	v_fma_f64 v[227:228], v[132:133], s[4:5], v[199:200]
	v_add_f64 v[207:208], v[223:224], v[207:208]
	v_mul_f64 v[223:224], v[140:141], s[6:7]
	v_fma_f64 v[229:230], v[126:127], s[20:21], -v[213:214]
	v_add_f64 v[221:222], v[225:226], v[221:222]
	v_add_f64 v[18:19], v[18:19], v[34:35]
	;; [unrolled: 1-line block ×3, first 2 shown]
	v_fma_f64 v[225:226], v[138:139], s[10:11], v[195:196]
	v_mul_f64 v[219:220], v[172:173], s[18:19]
	v_add_f64 v[207:208], v[227:228], v[207:208]
	v_mul_f64 v[227:228], v[142:143], s[46:47]
	v_fma_f64 v[231:232], v[130:131], s[4:5], -v[223:224]
	v_add_f64 v[221:222], v[229:230], v[221:222]
	v_add_f64 v[18:19], v[18:19], v[46:47]
	;; [unrolled: 1-line block ×3, first 2 shown]
	v_fma_f64 v[205:206], v[130:131], s[36:37], v[205:206]
	v_fma_f64 v[193:194], v[166:167], s[10:11], -v[219:220]
	v_add_f64 v[207:208], v[225:226], v[207:208]
	v_mul_f64 v[225:226], v[156:157], s[54:55]
	v_fma_f64 v[233:234], v[136:137], s[10:11], -v[227:228]
	v_add_f64 v[221:222], v[231:232], v[221:222]
	v_add_f64 v[18:19], v[18:19], v[50:51]
	;; [unrolled: 1-line block ×4, first 2 shown]
	v_fma_f64 v[187:188], v[120:121], s[22:23], -v[187:188]
	v_add_f64 v[191:192], v[205:206], v[191:192]
	v_fma_f64 v[104:105], v[150:151], s[36:37], -v[225:226]
	v_mul_f64 v[205:206], v[160:161], s[54:55]
	v_add_f64 v[221:222], v[233:234], v[221:222]
	v_add_f64 v[18:19], v[18:19], v[58:59]
	;; [unrolled: 1-line block ×3, first 2 shown]
	v_fma_f64 v[209:210], v[112:113], s[22:23], v[209:210]
	v_add_f64 v[187:188], v[22:23], v[187:188]
	v_fma_f64 v[211:212], v[128:129], s[20:21], -v[211:212]
	v_mul_f64 v[146:147], v[146:147], s[16:17]
	v_fma_f64 v[229:230], v[152:153], s[36:37], v[205:206]
	v_add_f64 v[221:222], v[104:105], v[221:222]
	v_add_f64 v[104:105], v[193:194], v[185:186]
	v_fma_f64 v[193:194], v[122:123], s[42:43], -v[203:204]
	v_add_f64 v[18:19], v[18:19], v[66:67]
	v_add_f64 v[48:49], v[48:49], v[64:65]
	v_fma_f64 v[201:202], v[116:117], s[42:43], v[201:202]
	v_mul_f64 v[64:65], v[114:115], s[16:17]
	v_fma_f64 v[199:200], v[132:133], s[4:5], -v[199:200]
	v_mul_f64 v[148:149], v[148:149], s[24:25]
	v_mul_f64 v[118:119], v[118:119], s[24:25]
	v_add_f64 v[187:188], v[193:194], v[187:188]
	v_fma_f64 v[193:194], v[152:153], s[36:37], -v[205:206]
	v_add_f64 v[205:206], v[20:21], v[209:210]
	v_add_f64 v[18:19], v[18:19], v[74:75]
	;; [unrolled: 1-line block ×3, first 2 shown]
	v_fma_f64 v[209:210], v[120:121], s[14:15], v[146:147]
	v_fma_f64 v[120:121], v[120:121], s[14:15], -v[146:147]
	v_fma_f64 v[72:73], v[112:113], s[14:15], v[64:65]
	v_add_f64 v[187:188], v[211:212], v[187:188]
	v_fma_f64 v[211:212], v[126:127], s[20:21], v[213:214]
	v_add_f64 v[201:202], v[201:202], v[205:206]
	v_fma_f64 v[64:65], v[112:113], s[14:15], -v[64:65]
	v_add_f64 v[18:19], v[18:19], v[70:71]
	v_add_f64 v[48:49], v[48:49], v[68:69]
	v_fma_f64 v[183:184], v[136:137], s[22:23], v[183:184]
	v_fma_f64 v[195:196], v[138:139], s[10:11], -v[195:196]
	v_mul_f64 v[134:135], v[134:135], s[38:39]
	v_fma_f64 v[205:206], v[122:123], s[22:23], v[148:149]
	v_add_f64 v[209:210], v[22:23], v[209:210]
	v_add_f64 v[187:188], v[199:200], v[187:188]
	v_fma_f64 v[199:200], v[130:131], s[4:5], v[223:224]
	v_add_f64 v[28:29], v[211:212], v[201:202]
	v_mul_f64 v[74:75], v[124:125], s[38:39]
	v_fma_f64 v[112:113], v[122:123], s[22:23], -v[148:149]
	v_add_f64 v[22:23], v[22:23], v[120:121]
	v_fma_f64 v[120:121], v[116:117], s[22:23], v[118:119]
	v_add_f64 v[68:69], v[20:21], v[72:73]
	v_fma_f64 v[70:71], v[116:117], s[22:23], -v[118:119]
	v_add_f64 v[20:21], v[20:21], v[64:65]
	v_add_f64 v[18:19], v[18:19], v[62:63]
	;; [unrolled: 1-line block ×3, first 2 shown]
	v_fma_f64 v[215:216], v[150:151], s[14:15], v[215:216]
	v_add_f64 v[183:184], v[183:184], v[191:192]
	v_mul_f64 v[191:192], v[170:171], s[50:51]
	v_mul_f64 v[30:31], v[144:145], s[44:45]
	v_fma_f64 v[144:145], v[128:129], s[30:31], v[134:135]
	v_add_f64 v[201:202], v[205:206], v[209:210]
	v_add_f64 v[187:188], v[195:196], v[187:188]
	v_fma_f64 v[195:196], v[136:137], s[10:11], v[227:228]
	v_add_f64 v[28:29], v[199:200], v[28:29]
	v_mul_f64 v[140:141], v[140:141], s[44:45]
	v_fma_f64 v[64:65], v[128:129], s[30:31], -v[134:135]
	v_add_f64 v[22:23], v[112:113], v[22:23]
	v_fma_f64 v[72:73], v[126:127], s[30:31], v[74:75]
	v_add_f64 v[60:61], v[120:121], v[68:69]
	v_fma_f64 v[62:63], v[126:127], s[30:31], -v[74:75]
	v_add_f64 v[20:21], v[70:71], v[20:21]
	v_add_f64 v[18:19], v[18:19], v[54:55]
	;; [unrolled: 1-line block ×3, first 2 shown]
	v_fma_f64 v[217:218], v[158:159], s[42:43], v[217:218]
	v_add_f64 v[183:184], v[215:216], v[183:184]
	v_mul_f64 v[215:216], v[174:175], s[34:35]
	v_fma_f64 v[231:232], v[162:163], s[30:31], v[191:192]
	v_add_f64 v[207:208], v[229:230], v[207:208]
	v_mul_f64 v[229:230], v[168:169], s[50:51]
	v_fma_f64 v[191:192], v[162:163], s[30:31], -v[191:192]
	v_mul_f64 v[32:33], v[154:155], s[40:41]
	v_fma_f64 v[34:35], v[132:133], s[42:43], v[30:31]
	v_add_f64 v[144:145], v[144:145], v[201:202]
	v_add_f64 v[154:155], v[193:194], v[187:188]
	v_fma_f64 v[187:188], v[150:151], s[36:37], v[225:226]
	v_add_f64 v[28:29], v[195:196], v[28:29]
	v_mul_f64 v[114:115], v[142:143], s[40:41]
	v_fma_f64 v[30:31], v[132:133], s[42:43], -v[30:31]
	v_add_f64 v[22:23], v[64:65], v[22:23]
	v_fma_f64 v[64:65], v[130:131], s[42:43], v[140:141]
	v_add_f64 v[52:53], v[72:73], v[60:61]
	v_fma_f64 v[54:55], v[130:131], s[42:43], -v[140:141]
	v_add_f64 v[20:21], v[62:63], v[20:21]
	v_add_f64 v[18:19], v[18:19], v[42:43]
	;; [unrolled: 1-line block ×4, first 2 shown]
	v_fma_f64 v[217:218], v[164:165], s[14:15], v[215:216]
	v_add_f64 v[207:208], v[231:232], v[207:208]
	v_mul_f64 v[44:45], v[160:161], s[26:27]
	v_fma_f64 v[46:47], v[138:139], s[36:37], v[32:33]
	v_add_f64 v[34:35], v[34:35], v[144:145]
	v_add_f64 v[144:145], v[191:192], v[154:155]
	v_fma_f64 v[154:155], v[158:159], s[30:31], v[229:230]
	v_add_f64 v[28:29], v[187:188], v[28:29]
	v_mul_f64 v[66:67], v[156:157], s[26:27]
	v_fma_f64 v[32:33], v[138:139], s[36:37], -v[32:33]
	v_add_f64 v[22:23], v[30:31], v[22:23]
	v_fma_f64 v[30:31], v[136:137], s[36:37], v[114:115]
	v_add_f64 v[42:43], v[64:65], v[52:53]
	v_fma_f64 v[48:49], v[136:137], s[36:37], -v[114:115]
	v_add_f64 v[20:21], v[54:55], v[20:21]
	v_add_f64 v[18:19], v[18:19], v[38:39]
	;; [unrolled: 1-line block ×5, first 2 shown]
	v_fma_f64 v[207:208], v[164:165], s[14:15], -v[215:216]
	v_mul_f64 v[50:51], v[170:171], s[18:19]
	v_fma_f64 v[160:161], v[152:153], s[20:21], v[44:45]
	v_add_f64 v[28:29], v[154:155], v[28:29]
	v_mul_f64 v[154:155], v[168:169], s[18:19]
	v_fma_f64 v[44:45], v[152:153], s[20:21], -v[44:45]
	v_add_f64 v[22:23], v[32:33], v[22:23]
	v_fma_f64 v[32:33], v[150:151], s[20:21], v[66:67]
	v_add_f64 v[30:31], v[30:31], v[42:43]
	v_add_f64 v[34:35], v[46:47], v[34:35]
	v_fma_f64 v[38:39], v[150:151], s[20:21], -v[66:67]
	v_add_f64 v[20:21], v[48:49], v[20:21]
	v_add_f64 v[18:19], v[18:19], v[26:27]
	;; [unrolled: 1-line block ×4, first 2 shown]
	v_mul_f64 v[56:57], v[174:175], s[6:7]
	v_mul_f64 v[144:145], v[172:173], s[6:7]
	v_fma_f64 v[40:41], v[162:163], s[10:11], -v[50:51]
	v_add_f64 v[22:23], v[44:45], v[22:23]
	v_fma_f64 v[42:43], v[158:159], s[10:11], v[154:155]
	v_add_f64 v[26:27], v[32:33], v[30:31]
	v_mul_f64 v[231:232], v[172:173], s[34:35]
	v_fma_f64 v[233:234], v[158:159], s[30:31], -v[229:230]
	v_fma_f64 v[58:59], v[162:163], s[10:11], v[50:51]
	v_add_f64 v[34:35], v[160:161], v[34:35]
	v_fma_f64 v[30:31], v[158:159], s[10:11], -v[154:155]
	v_add_f64 v[20:21], v[38:39], v[20:21]
	v_add_f64 v[14:15], v[18:19], v[14:15]
	;; [unrolled: 1-line block ×3, first 2 shown]
	v_fma_f64 v[32:33], v[164:165], s[4:5], -v[56:57]
	v_add_f64 v[22:23], v[40:41], v[22:23]
	v_fma_f64 v[36:37], v[166:167], s[4:5], v[144:145]
	v_add_f64 v[24:25], v[42:43], v[26:27]
	v_fma_f64 v[46:47], v[166:167], s[14:15], v[231:232]
	v_fma_f64 v[219:220], v[166:167], s[10:11], v[219:220]
	v_fma_f64 v[197:198], v[166:167], s[14:15], -v[231:232]
	v_add_f64 v[203:204], v[233:234], v[221:222]
	v_fma_f64 v[26:27], v[164:165], s[4:5], v[56:57]
	v_add_f64 v[34:35], v[58:59], v[34:35]
	v_fma_f64 v[38:39], v[166:167], s[4:5], -v[144:145]
	v_add_f64 v[30:31], v[30:31], v[20:21]
	v_add_f64 v[20:21], v[14:15], v[10:11]
	;; [unrolled: 1-line block ×7, first 2 shown]
	v_mul_u32_u24_e32 v8, 0x110, v108
	v_add3_u32 v8, 0, v8, v178
	v_add_f64 v[187:188], v[197:198], v[203:204]
	v_add_f64 v[24:25], v[26:27], v[34:35]
	;; [unrolled: 1-line block ×3, first 2 shown]
	ds_write_b128 v8, v[18:21]
	ds_write_b128 v8, v[10:13] offset:16
	ds_write_b128 v8, v[14:17] offset:32
	;; [unrolled: 1-line block ×16, first 2 shown]
.LBB0_20:
	s_or_b64 exec, exec, s[28:29]
	s_waitcnt lgkmcnt(0)
	s_barrier
	ds_read_b128 v[8:11], v177
	ds_read_b128 v[12:15], v109 offset:544
	ds_read_b128 v[28:31], v109 offset:2448
	;; [unrolled: 1-line block ×7, first 2 shown]
	s_and_saveexec_b64 s[2:3], vcc
	s_cbranch_execz .LBB0_22
; %bb.21:
	ds_read_b128 v[0:3], v109 offset:2176
	ds_read_b128 v[4:7], v109 offset:4624
.LBB0_22:
	s_or_b64 exec, exec, s[2:3]
	v_subrev_u32_e32 v40, 17, v108
	v_cndmask_b32_e32 v40, v40, v108, vcc
	v_mov_b32_e32 v41, 0
	v_lshlrev_b64 v[42:43], 4, v[40:41]
	v_mov_b32_e32 v44, s9
	v_add_co_u32_e64 v51, s[2:3], s8, v42
	v_add_u16_e32 v42, 34, v108
	s_movk_i32 s4, 0xf1
	v_addc_co_u32_e64 v52, s[2:3], v44, v43, s[2:3]
	v_mul_lo_u16_sdwa v43, v42, s4 dst_sel:DWORD dst_unused:UNUSED_PAD src0_sel:BYTE_0 src1_sel:DWORD
	v_lshrrev_b16_e32 v59, 12, v43
	v_mul_lo_u16_e32 v43, 17, v59
	v_sub_u16_e32 v43, v42, v43
	v_mov_b32_e32 v42, 4
	v_lshlrev_b32_sdwa v60, v42, v43 dst_sel:DWORD dst_unused:UNUSED_PAD src0_sel:DWORD src1_sel:BYTE_0
	global_load_dwordx4 v[43:46], v[51:52], off
	global_load_dwordx4 v[47:50], v60, s[8:9]
	v_add_u16_e32 v51, 0x44, v108
	v_mul_lo_u16_sdwa v52, v51, s4 dst_sel:DWORD dst_unused:UNUSED_PAD src0_sel:BYTE_0 src1_sel:DWORD
	v_lshrrev_b16_e32 v61, 12, v52
	v_mul_lo_u16_e32 v52, 17, v61
	v_sub_u16_e32 v51, v51, v52
	v_lshlrev_b32_sdwa v62, v42, v51 dst_sel:DWORD dst_unused:UNUSED_PAD src0_sel:DWORD src1_sel:BYTE_0
	v_add_u16_e32 v51, 0x66, v108
	v_mul_lo_u16_sdwa v52, v51, s4 dst_sel:DWORD dst_unused:UNUSED_PAD src0_sel:BYTE_0 src1_sel:DWORD
	v_lshrrev_b16_e32 v63, 12, v52
	v_mul_lo_u16_e32 v52, 17, v63
	v_sub_u16_e32 v55, v51, v52
	global_load_dwordx4 v[51:54], v62, s[8:9]
	v_lshlrev_b32_sdwa v67, v42, v55 dst_sel:DWORD dst_unused:UNUSED_PAD src0_sel:DWORD src1_sel:BYTE_0
	global_load_dwordx4 v[55:58], v67, s[8:9]
	s_movk_i32 s5, 0x220
	v_mad_u32_u24 v59, v59, s5, 0
	v_mov_b32_e32 v64, 0x220
	v_cmp_lt_u32_e64 s[2:3], 16, v108
	v_add3_u32 v69, v59, v60, v178
	v_cndmask_b32_e64 v64, 0, v64, s[2:3]
	v_mad_u32_u24 v61, v61, s5, 0
	v_add_u32_e32 v64, 0, v64
	v_lshlrev_b32_e32 v40, 4, v40
	v_add3_u32 v70, v61, v62, v178
	v_add3_u32 v40, v64, v40, v178
	v_mad_u32_u24 v68, v63, s5, 0
	s_waitcnt vmcnt(0) lgkmcnt(0)
	s_barrier
	v_mul_f64 v[59:60], v[30:31], v[45:46]
	v_mul_f64 v[45:46], v[28:29], v[45:46]
	;; [unrolled: 1-line block ×4, first 2 shown]
	v_fma_f64 v[28:29], v[28:29], v[43:44], v[59:60]
	v_fma_f64 v[30:31], v[30:31], v[43:44], -v[45:46]
	v_fma_f64 v[43:44], v[24:25], v[47:48], v[61:62]
	v_fma_f64 v[45:46], v[26:27], v[47:48], -v[49:50]
	v_mul_f64 v[63:64], v[38:39], v[53:54]
	v_mul_f64 v[53:54], v[36:37], v[53:54]
	;; [unrolled: 1-line block ×4, first 2 shown]
	v_add_f64 v[24:25], v[8:9], -v[28:29]
	v_add_f64 v[26:27], v[10:11], -v[30:31]
	;; [unrolled: 1-line block ×4, first 2 shown]
	v_fma_f64 v[36:37], v[36:37], v[51:52], v[63:64]
	v_fma_f64 v[38:39], v[38:39], v[51:52], -v[53:54]
	v_fma_f64 v[47:48], v[32:33], v[55:56], v[65:66]
	v_fma_f64 v[49:50], v[34:35], v[55:56], -v[57:58]
	v_fma_f64 v[8:9], v[8:9], 2.0, -v[24:25]
	v_fma_f64 v[10:11], v[10:11], 2.0, -v[26:27]
	v_fma_f64 v[12:13], v[12:13], 2.0, -v[28:29]
	v_fma_f64 v[14:15], v[14:15], 2.0, -v[30:31]
	v_add_f64 v[32:33], v[16:17], -v[36:37]
	v_add_f64 v[34:35], v[18:19], -v[38:39]
	;; [unrolled: 1-line block ×4, first 2 shown]
	v_add3_u32 v43, v68, v67, v178
	v_fma_f64 v[16:17], v[16:17], 2.0, -v[32:33]
	v_fma_f64 v[18:19], v[18:19], 2.0, -v[34:35]
	;; [unrolled: 1-line block ×4, first 2 shown]
	ds_write_b128 v40, v[24:27] offset:272
	ds_write_b128 v40, v[8:11]
	ds_write_b128 v69, v[28:31] offset:272
	ds_write_b128 v69, v[12:15]
	ds_write_b128 v70, v[16:19]
	ds_write_b128 v70, v[32:35] offset:272
	ds_write_b128 v43, v[20:23]
	ds_write_b128 v43, v[36:39] offset:272
	s_and_saveexec_b64 s[2:3], vcc
	s_cbranch_execz .LBB0_24
; %bb.23:
	v_add_u16_e32 v8, 0x88, v108
	v_mul_lo_u16_sdwa v9, v8, s4 dst_sel:DWORD dst_unused:UNUSED_PAD src0_sel:BYTE_0 src1_sel:DWORD
	v_lshrrev_b16_e32 v9, 12, v9
	v_mul_lo_u16_e32 v9, 17, v9
	v_sub_u16_e32 v8, v8, v9
	v_lshlrev_b32_sdwa v14, v42, v8 dst_sel:DWORD dst_unused:UNUSED_PAD src0_sel:DWORD src1_sel:BYTE_0
	global_load_dwordx4 v[8:11], v14, s[8:9]
	s_waitcnt vmcnt(0)
	v_mul_f64 v[12:13], v[4:5], v[10:11]
	v_mul_f64 v[10:11], v[6:7], v[10:11]
	v_fma_f64 v[6:7], v[6:7], v[8:9], -v[12:13]
	v_fma_f64 v[4:5], v[4:5], v[8:9], v[10:11]
	v_add3_u32 v8, 0, v14, v178
	v_add_f64 v[6:7], v[2:3], -v[6:7]
	v_add_f64 v[4:5], v[0:1], -v[4:5]
	v_fma_f64 v[2:3], v[2:3], 2.0, -v[6:7]
	v_fma_f64 v[0:1], v[0:1], 2.0, -v[4:5]
	ds_write_b128 v8, v[0:3] offset:4352
	ds_write_b128 v8, v[4:7] offset:4624
.LBB0_24:
	s_or_b64 exec, exec, s[2:3]
	v_lshlrev_b32_e32 v40, 3, v108
	v_lshlrev_b64 v[0:1], 4, v[40:41]
	v_mov_b32_e32 v2, s9
	v_add_co_u32_e32 v32, vcc, s8, v0
	v_addc_co_u32_e32 v33, vcc, v2, v1, vcc
	s_waitcnt lgkmcnt(0)
	s_barrier
	global_load_dwordx4 v[0:3], v[32:33], off offset:272
	global_load_dwordx4 v[4:7], v[32:33], off offset:288
	;; [unrolled: 1-line block ×8, first 2 shown]
	ds_read_b128 v[32:35], v177
	ds_read_b128 v[36:39], v109 offset:544
	ds_read_b128 v[40:43], v109 offset:1088
	;; [unrolled: 1-line block ×8, first 2 shown]
	s_mov_b32 s18, 0xa2cf5039
	s_mov_b32 s5, 0x3fe491b7
	;; [unrolled: 1-line block ×16, first 2 shown]
	s_waitcnt vmcnt(0) lgkmcnt(0)
	s_barrier
	v_mul_f64 v[68:69], v[38:39], v[2:3]
	v_mul_f64 v[2:3], v[36:37], v[2:3]
	;; [unrolled: 1-line block ×16, first 2 shown]
	v_fma_f64 v[36:37], v[36:37], v[0:1], v[68:69]
	v_fma_f64 v[0:1], v[38:39], v[0:1], -v[2:3]
	v_fma_f64 v[2:3], v[40:41], v[4:5], v[70:71]
	v_fma_f64 v[4:5], v[42:43], v[4:5], -v[6:7]
	;; [unrolled: 2-line block ×8, first 2 shown]
	v_add_f64 v[18:19], v[36:37], v[10:11]
	v_add_f64 v[30:31], v[0:1], v[14:15]
	v_add_f64 v[36:37], v[36:37], -v[10:11]
	v_add_f64 v[14:15], v[0:1], -v[14:15]
	v_add_f64 v[40:41], v[2:3], v[28:29]
	v_add_f64 v[42:43], v[4:5], v[24:25]
	;; [unrolled: 1-line block ×4, first 2 shown]
	v_add_f64 v[0:1], v[2:3], -v[28:29]
	v_add_f64 v[4:5], v[4:5], -v[24:25]
	;; [unrolled: 1-line block ×5, first 2 shown]
	v_add_f64 v[8:9], v[12:13], v[16:17]
	v_mul_f64 v[26:27], v[36:37], s[4:5]
	v_mul_f64 v[28:29], v[14:15], s[4:5]
	v_fma_f64 v[48:49], v[18:19], s[18:19], v[32:33]
	v_fma_f64 v[50:51], v[30:31], s[18:19], v[34:35]
	v_add_f64 v[6:7], v[38:39], v[22:23]
	v_add_f64 v[10:11], v[12:13], -v[16:17]
	s_mov_b32 s5, 0xbfe491b7
	v_fma_f64 v[54:55], v[8:9], s[18:19], v[34:35]
	v_mul_f64 v[76:77], v[2:3], s[4:5]
	v_fma_f64 v[26:27], v[0:1], s[8:9], v[26:27]
	v_fma_f64 v[28:29], v[4:5], s[8:9], v[28:29]
	;; [unrolled: 1-line block ×5, first 2 shown]
	v_mul_f64 v[78:79], v[10:11], s[4:5]
	v_fma_f64 v[54:55], v[30:31], s[14:15], v[54:55]
	v_fma_f64 v[76:77], v[36:37], s[8:9], v[76:77]
	v_fma_f64 v[26:27], v[24:25], s[2:3], v[26:27]
	v_fma_f64 v[28:29], v[20:21], s[2:3], v[28:29]
	v_fma_f64 v[48:49], v[44:45], -0.5, v[48:49]
	v_fma_f64 v[50:51], v[46:47], -0.5, v[50:51]
	v_fma_f64 v[52:53], v[18:19], s[14:15], v[52:53]
	v_fma_f64 v[78:79], v[14:15], s[8:9], v[78:79]
	v_add_f64 v[56:57], v[2:3], v[36:37]
	v_add_f64 v[58:59], v[10:11], v[14:15]
	v_mul_f64 v[68:69], v[2:3], s[8:9]
	v_mul_f64 v[70:71], v[10:11], s[8:9]
	v_fma_f64 v[54:55], v[46:47], -0.5, v[54:55]
	v_fma_f64 v[76:77], v[24:25], s[16:17], v[76:77]
	v_fma_f64 v[26:27], v[2:3], s[6:7], v[26:27]
	;; [unrolled: 1-line block ×7, first 2 shown]
	v_fma_f64 v[52:53], v[44:45], -0.5, v[52:53]
	v_fma_f64 v[78:79], v[20:21], s[16:17], v[78:79]
	v_add_f64 v[64:65], v[40:41], v[18:19]
	v_add_f64 v[66:67], v[42:43], v[30:31]
	v_add_f64 v[56:57], v[56:57], -v[0:1]
	v_fma_f64 v[50:51], v[0:1], s[4:5], -v[68:69]
	v_fma_f64 v[42:43], v[42:43], s[10:11], v[54:55]
	v_fma_f64 v[54:55], v[0:1], s[6:7], v[76:77]
	v_add_f64 v[0:1], v[2:3], -v[10:11]
	v_add_f64 v[2:3], v[26:27], v[28:29]
	v_fma_f64 v[40:41], v[40:41], s[10:11], v[52:53]
	v_fma_f64 v[52:53], v[4:5], s[6:7], v[78:79]
	v_fma_f64 v[28:29], v[4:5], s[4:5], -v[70:71]
	v_fma_f64 v[68:69], v[6:7], s[14:15], v[72:73]
	v_fma_f64 v[70:71], v[8:9], s[14:15], v[74:75]
	v_add_f64 v[80:81], v[6:7], v[64:65]
	v_add_f64 v[48:49], v[8:9], v[66:67]
	;; [unrolled: 1-line block ×3, first 2 shown]
	v_fma_f64 v[8:9], v[10:11], 2.0, v[0:1]
	v_fma_f64 v[10:11], v[26:27], -2.0, v[2:3]
	v_add_f64 v[26:27], v[46:47], v[66:67]
	v_add_f64 v[58:59], v[58:59], -v[4:5]
	v_add_f64 v[4:5], v[40:41], -v[52:53]
	v_fma_f64 v[24:25], v[24:25], s[2:3], v[50:51]
	v_fma_f64 v[20:21], v[20:21], s[2:3], v[28:29]
	v_fma_f64 v[28:29], v[44:45], -0.5, v[68:69]
	v_fma_f64 v[40:41], v[46:47], -0.5, v[70:71]
	v_add_f64 v[60:61], v[32:33], v[44:45]
	v_add_f64 v[62:63], v[34:35], v[46:47]
	v_add_f64 v[38:39], v[38:39], v[64:65]
	v_add_f64 v[12:13], v[12:13], v[26:27]
	v_fma_f64 v[36:37], v[36:37], s[6:7], v[24:25]
	v_fma_f64 v[46:47], v[14:15], s[6:7], v[20:21]
	;; [unrolled: 1-line block ×4, first 2 shown]
	v_add_f64 v[6:7], v[54:55], v[42:43]
	v_fma_f64 v[42:43], v[80:81], -0.5, v[60:61]
	v_fma_f64 v[44:45], v[48:49], -0.5, v[62:63]
	v_add_f64 v[24:25], v[22:23], v[38:39]
	v_add_f64 v[26:27], v[16:17], v[12:13]
	v_mul_f64 v[30:31], v[56:57], s[2:3]
	v_add_f64 v[16:17], v[18:19], -v[46:47]
	v_add_f64 v[18:19], v[36:37], v[20:21]
	v_mul_f64 v[28:29], v[58:59], s[2:3]
	v_fma_f64 v[12:13], v[58:59], s[16:17], v[42:43]
	v_fma_f64 v[14:15], v[56:57], s[2:3], v[44:45]
	v_add_f64 v[24:25], v[32:33], v[24:25]
	v_add_f64 v[26:27], v[34:35], v[26:27]
	v_fma_f64 v[20:21], v[52:53], 2.0, v[4:5]
	v_fma_f64 v[32:33], v[46:47], 2.0, v[16:17]
	v_fma_f64 v[34:35], v[36:37], -2.0, v[18:19]
	v_fma_f64 v[22:23], v[54:55], -2.0, v[6:7]
	v_fma_f64 v[28:29], v[28:29], 2.0, v[12:13]
	v_fma_f64 v[30:31], v[30:31], -2.0, v[14:15]
	ds_write_b128 v109, v[24:27]
	ds_write_b128 v109, v[0:3] offset:544
	ds_write_b128 v109, v[4:7] offset:1088
	;; [unrolled: 1-line block ×8, first 2 shown]
	s_waitcnt lgkmcnt(0)
	s_barrier
	s_and_saveexec_b64 s[2:3], s[0:1]
	s_cbranch_execz .LBB0_26
; %bb.25:
	v_lshl_add_u32 v10, v108, 4, v176
	v_mov_b32_e32 v109, 0
	ds_read_b128 v[0:3], v10
	v_mov_b32_e32 v4, s13
	v_add_co_u32_e32 v11, vcc, s12, v110
	v_addc_co_u32_e32 v12, vcc, v4, v111, vcc
	v_lshlrev_b64 v[4:5], 4, v[108:109]
	v_add_co_u32_e32 v8, vcc, v11, v4
	v_addc_co_u32_e32 v9, vcc, v12, v5, vcc
	ds_read_b128 v[4:7], v10 offset:544
	s_waitcnt lgkmcnt(1)
	global_store_dwordx4 v[8:9], v[0:3], off
	s_nop 0
	v_add_u32_e32 v0, 34, v108
	v_mov_b32_e32 v1, v109
	v_lshlrev_b64 v[0:1], 4, v[0:1]
	v_add_co_u32_e32 v0, vcc, v11, v0
	v_addc_co_u32_e32 v1, vcc, v12, v1, vcc
	s_waitcnt lgkmcnt(0)
	global_store_dwordx4 v[0:1], v[4:7], off
	ds_read_b128 v[0:3], v10 offset:1088
	v_add_u32_e32 v4, 0x44, v108
	v_mov_b32_e32 v5, v109
	v_lshlrev_b64 v[4:5], 4, v[4:5]
	v_add_co_u32_e32 v8, vcc, v11, v4
	v_addc_co_u32_e32 v9, vcc, v12, v5, vcc
	ds_read_b128 v[4:7], v10 offset:1632
	s_waitcnt lgkmcnt(1)
	global_store_dwordx4 v[8:9], v[0:3], off
	s_nop 0
	v_add_u32_e32 v0, 0x66, v108
	v_mov_b32_e32 v1, v109
	v_lshlrev_b64 v[0:1], 4, v[0:1]
	v_add_co_u32_e32 v0, vcc, v11, v0
	v_addc_co_u32_e32 v1, vcc, v12, v1, vcc
	s_waitcnt lgkmcnt(0)
	global_store_dwordx4 v[0:1], v[4:7], off
	ds_read_b128 v[0:3], v10 offset:2176
	v_add_u32_e32 v4, 0x88, v108
	v_mov_b32_e32 v5, v109
	;; [unrolled: 17-line block ×3, first 2 shown]
	v_lshlrev_b64 v[4:5], 4, v[4:5]
	v_add_co_u32_e32 v8, vcc, v11, v4
	v_addc_co_u32_e32 v9, vcc, v12, v5, vcc
	ds_read_b128 v[4:7], v10 offset:3808
	s_waitcnt lgkmcnt(1)
	global_store_dwordx4 v[8:9], v[0:3], off
	s_nop 0
	v_add_u32_e32 v0, 0xee, v108
	v_mov_b32_e32 v1, v109
	v_lshlrev_b64 v[0:1], 4, v[0:1]
	v_add_u32_e32 v108, 0x110, v108
	v_add_co_u32_e32 v0, vcc, v11, v0
	v_addc_co_u32_e32 v1, vcc, v12, v1, vcc
	s_waitcnt lgkmcnt(0)
	global_store_dwordx4 v[0:1], v[4:7], off
	ds_read_b128 v[0:3], v10 offset:4352
	v_lshlrev_b64 v[4:5], 4, v[108:109]
	v_add_co_u32_e32 v4, vcc, v11, v4
	v_addc_co_u32_e32 v5, vcc, v12, v5, vcc
	s_waitcnt lgkmcnt(0)
	global_store_dwordx4 v[4:5], v[0:3], off
.LBB0_26:
	s_endpgm
	.section	.rodata,"a",@progbits
	.p2align	6, 0x0
	.amdhsa_kernel fft_rtc_back_len306_factors_17_2_9_wgs_238_tpt_34_halfLds_dp_ip_CI_unitstride_sbrr_C2R_dirReg
		.amdhsa_group_segment_fixed_size 0
		.amdhsa_private_segment_fixed_size 0
		.amdhsa_kernarg_size 88
		.amdhsa_user_sgpr_count 6
		.amdhsa_user_sgpr_private_segment_buffer 1
		.amdhsa_user_sgpr_dispatch_ptr 0
		.amdhsa_user_sgpr_queue_ptr 0
		.amdhsa_user_sgpr_kernarg_segment_ptr 1
		.amdhsa_user_sgpr_dispatch_id 0
		.amdhsa_user_sgpr_flat_scratch_init 0
		.amdhsa_user_sgpr_private_segment_size 0
		.amdhsa_uses_dynamic_stack 0
		.amdhsa_system_sgpr_private_segment_wavefront_offset 0
		.amdhsa_system_sgpr_workgroup_id_x 1
		.amdhsa_system_sgpr_workgroup_id_y 0
		.amdhsa_system_sgpr_workgroup_id_z 0
		.amdhsa_system_sgpr_workgroup_info 0
		.amdhsa_system_vgpr_workitem_id 0
		.amdhsa_next_free_vgpr 235
		.amdhsa_next_free_sgpr 60
		.amdhsa_reserve_vcc 1
		.amdhsa_reserve_flat_scratch 0
		.amdhsa_float_round_mode_32 0
		.amdhsa_float_round_mode_16_64 0
		.amdhsa_float_denorm_mode_32 3
		.amdhsa_float_denorm_mode_16_64 3
		.amdhsa_dx10_clamp 1
		.amdhsa_ieee_mode 1
		.amdhsa_fp16_overflow 0
		.amdhsa_exception_fp_ieee_invalid_op 0
		.amdhsa_exception_fp_denorm_src 0
		.amdhsa_exception_fp_ieee_div_zero 0
		.amdhsa_exception_fp_ieee_overflow 0
		.amdhsa_exception_fp_ieee_underflow 0
		.amdhsa_exception_fp_ieee_inexact 0
		.amdhsa_exception_int_div_zero 0
	.end_amdhsa_kernel
	.text
.Lfunc_end0:
	.size	fft_rtc_back_len306_factors_17_2_9_wgs_238_tpt_34_halfLds_dp_ip_CI_unitstride_sbrr_C2R_dirReg, .Lfunc_end0-fft_rtc_back_len306_factors_17_2_9_wgs_238_tpt_34_halfLds_dp_ip_CI_unitstride_sbrr_C2R_dirReg
                                        ; -- End function
	.section	.AMDGPU.csdata,"",@progbits
; Kernel info:
; codeLenInByte = 11536
; NumSgprs: 64
; NumVgprs: 235
; ScratchSize: 0
; MemoryBound: 0
; FloatMode: 240
; IeeeMode: 1
; LDSByteSize: 0 bytes/workgroup (compile time only)
; SGPRBlocks: 7
; VGPRBlocks: 58
; NumSGPRsForWavesPerEU: 64
; NumVGPRsForWavesPerEU: 235
; Occupancy: 1
; WaveLimiterHint : 1
; COMPUTE_PGM_RSRC2:SCRATCH_EN: 0
; COMPUTE_PGM_RSRC2:USER_SGPR: 6
; COMPUTE_PGM_RSRC2:TRAP_HANDLER: 0
; COMPUTE_PGM_RSRC2:TGID_X_EN: 1
; COMPUTE_PGM_RSRC2:TGID_Y_EN: 0
; COMPUTE_PGM_RSRC2:TGID_Z_EN: 0
; COMPUTE_PGM_RSRC2:TIDIG_COMP_CNT: 0
	.type	__hip_cuid_a4a4ade8acae5c3e,@object ; @__hip_cuid_a4a4ade8acae5c3e
	.section	.bss,"aw",@nobits
	.globl	__hip_cuid_a4a4ade8acae5c3e
__hip_cuid_a4a4ade8acae5c3e:
	.byte	0                               ; 0x0
	.size	__hip_cuid_a4a4ade8acae5c3e, 1

	.ident	"AMD clang version 19.0.0git (https://github.com/RadeonOpenCompute/llvm-project roc-6.4.0 25133 c7fe45cf4b819c5991fe208aaa96edf142730f1d)"
	.section	".note.GNU-stack","",@progbits
	.addrsig
	.addrsig_sym __hip_cuid_a4a4ade8acae5c3e
	.amdgpu_metadata
---
amdhsa.kernels:
  - .args:
      - .actual_access:  read_only
        .address_space:  global
        .offset:         0
        .size:           8
        .value_kind:     global_buffer
      - .offset:         8
        .size:           8
        .value_kind:     by_value
      - .actual_access:  read_only
        .address_space:  global
        .offset:         16
        .size:           8
        .value_kind:     global_buffer
      - .actual_access:  read_only
        .address_space:  global
        .offset:         24
        .size:           8
        .value_kind:     global_buffer
      - .offset:         32
        .size:           8
        .value_kind:     by_value
      - .actual_access:  read_only
        .address_space:  global
        .offset:         40
        .size:           8
        .value_kind:     global_buffer
      - .actual_access:  read_only
        .address_space:  global
        .offset:         48
        .size:           8
        .value_kind:     global_buffer
      - .offset:         56
        .size:           4
        .value_kind:     by_value
      - .actual_access:  read_only
        .address_space:  global
        .offset:         64
        .size:           8
        .value_kind:     global_buffer
      - .actual_access:  read_only
        .address_space:  global
        .offset:         72
        .size:           8
        .value_kind:     global_buffer
      - .address_space:  global
        .offset:         80
        .size:           8
        .value_kind:     global_buffer
    .group_segment_fixed_size: 0
    .kernarg_segment_align: 8
    .kernarg_segment_size: 88
    .language:       OpenCL C
    .language_version:
      - 2
      - 0
    .max_flat_workgroup_size: 238
    .name:           fft_rtc_back_len306_factors_17_2_9_wgs_238_tpt_34_halfLds_dp_ip_CI_unitstride_sbrr_C2R_dirReg
    .private_segment_fixed_size: 0
    .sgpr_count:     64
    .sgpr_spill_count: 0
    .symbol:         fft_rtc_back_len306_factors_17_2_9_wgs_238_tpt_34_halfLds_dp_ip_CI_unitstride_sbrr_C2R_dirReg.kd
    .uniform_work_group_size: 1
    .uses_dynamic_stack: false
    .vgpr_count:     235
    .vgpr_spill_count: 0
    .wavefront_size: 64
amdhsa.target:   amdgcn-amd-amdhsa--gfx906
amdhsa.version:
  - 1
  - 2
...

	.end_amdgpu_metadata
